;; amdgpu-corpus repo=ROCm/rocFFT kind=compiled arch=gfx1030 opt=O3
	.text
	.amdgcn_target "amdgcn-amd-amdhsa--gfx1030"
	.amdhsa_code_object_version 6
	.protected	bluestein_single_back_len2002_dim1_dp_op_CI_CI ; -- Begin function bluestein_single_back_len2002_dim1_dp_op_CI_CI
	.globl	bluestein_single_back_len2002_dim1_dp_op_CI_CI
	.p2align	8
	.type	bluestein_single_back_len2002_dim1_dp_op_CI_CI,@function
bluestein_single_back_len2002_dim1_dp_op_CI_CI: ; @bluestein_single_back_len2002_dim1_dp_op_CI_CI
; %bb.0:
	s_load_dwordx4 s[8:11], s[4:5], 0x28
	v_mul_u32_u24_e32 v1, 0x169, v0
	s_mov_b64 s[50:51], s[2:3]
	s_mov_b64 s[48:49], s[0:1]
	v_mov_b32_e32 v15, 0
	s_add_u32 s48, s48, s7
	v_lshrrev_b32_e32 v1, 16, v1
	s_addc_u32 s49, s49, 0
	s_mov_b32 s0, exec_lo
	v_add_nc_u32_e32 v14, s6, v1
	s_waitcnt lgkmcnt(0)
	v_cmpx_gt_u64_e64 s[8:9], v[14:15]
	s_cbranch_execz .LBB0_31
; %bb.1:
	s_clause 0x1
	s_load_dwordx4 s[0:3], s[4:5], 0x18
	s_load_dwordx2 s[6:7], s[4:5], 0x0
	v_mul_lo_u16 v1, 0xb6, v1
	v_mov_b32_e32 v15, v14
	v_sub_nc_u16 v83, v0, v1
	v_and_b32_e32 v108, 0xffff, v83
	v_lshlrev_b32_e32 v255, 4, v108
	s_waitcnt lgkmcnt(0)
	s_load_dwordx4 s[12:15], s[0:1], 0x0
	v_add_co_u32 v242, s0, s6, v255
	global_load_dwordx4 v[84:87], v255, s[6:7]
	v_add_co_ci_u32_e64 v24, null, s7, 0, s0
	v_add_co_u32 v16, vcc_lo, 0x3800, v242
	buffer_store_dword v15, off, s[48:51], 0 offset:28 ; 4-byte Folded Spill
	buffer_store_dword v16, off, s[48:51], 0 offset:32 ; 4-byte Folded Spill
	v_add_co_ci_u32_e32 v17, vcc_lo, 0, v24, vcc_lo
	v_add_co_u32 v0, vcc_lo, 0x800, v242
	v_add_co_ci_u32_e32 v1, vcc_lo, 0, v24, vcc_lo
	v_add_co_u32 v2, vcc_lo, 0x4800, v242
	;; [unrolled: 2-line block ×3, first 2 shown]
	s_waitcnt lgkmcnt(0)
	v_mad_u64_u32 v[6:7], null, s14, v14, 0
	v_add_co_ci_u32_e32 v5, vcc_lo, 0, v24, vcc_lo
	v_add_co_u32 v8, vcc_lo, 0x5000, v242
	v_mad_u64_u32 v[10:11], null, s12, v108, 0
	v_add_co_ci_u32_e32 v9, vcc_lo, 0, v24, vcc_lo
	v_add_co_u32 v12, vcc_lo, 0x2000, v242
	;; [unrolled: 3-line block ×3, first 2 shown]
	v_add_co_ci_u32_e32 v23, vcc_lo, 0, v24, vcc_lo
	v_mov_b32_e32 v7, v14
	s_mul_i32 s1, s13, 0x3e9
	s_mul_hi_u32 s7, s12, 0x3e9
	s_mul_i32 s0, s12, 0x3e9
	s_mul_hi_u32 s9, s12, 0xfffffccd
	s_add_i32 s1, s7, s1
	s_mul_i32 s8, s13, 0xfffffccd
	s_mul_i32 s6, s12, 0xfffffccd
	s_sub_i32 s7, s9, s12
	buffer_store_dword v16, off, s[48:51], 0 offset:20 ; 4-byte Folded Spill
	buffer_store_dword v17, off, s[48:51], 0 offset:24 ; 4-byte Folded Spill
	s_add_i32 s7, s7, s8
	s_clause 0x1
	global_load_dwordx4 v[109:112], v[16:17], off offset:1680
	global_load_dwordx4 v[104:107], v[0:1], off offset:864
	v_mad_u64_u32 v[0:1], null, s13, v108, v[11:12]
	s_clause 0x1
	global_load_dwordx4 v[96:99], v[2:3], off offset:496
	global_load_dwordx4 v[100:103], v[4:5], off offset:1728
	s_lshl_b64 s[12:13], s[0:1], 4
	s_lshl_b64 s[0:1], s[6:7], 4
	s_clause 0x1
	global_load_dwordx4 v[92:95], v[8:9], off offset:1360
	global_load_dwordx4 v[88:91], v[12:13], off offset:544
	v_mov_b32_e32 v11, v0
	v_lshlrev_b64 v[0:1], 4, v[6:7]
	v_lshlrev_b64 v[2:3], 4, v[10:11]
	v_add_co_u32 v0, vcc_lo, s10, v0
	v_add_co_ci_u32_e32 v1, vcc_lo, s11, v1, vcc_lo
	v_add_co_u32 v0, vcc_lo, v0, v2
	v_add_co_ci_u32_e32 v1, vcc_lo, v1, v3, vcc_lo
	;; [unrolled: 2-line block ×4, first 2 shown]
	s_clause 0x1
	global_load_dwordx4 v[2:5], v[0:1], off
	global_load_dwordx4 v[6:9], v[6:7], off
	v_add_co_u32 v14, vcc_lo, v10, s12
	v_add_co_ci_u32_e32 v15, vcc_lo, s13, v11, vcc_lo
	global_load_dwordx4 v[10:13], v[10:11], off
	v_add_co_u32 v18, vcc_lo, v14, s0
	v_add_co_ci_u32_e32 v19, vcc_lo, s1, v15, vcc_lo
	v_add_co_u32 v25, vcc_lo, v18, s12
	v_add_co_ci_u32_e32 v26, vcc_lo, s13, v19, vcc_lo
	;; [unrolled: 2-line block ×4, first 2 shown]
	s_clause 0x1
	global_load_dwordx4 v[14:17], v[14:15], off
	global_load_dwordx4 v[18:21], v[18:19], off
	;; [unrolled: 1-line block ×5, first 2 shown]
	v_add_co_u32 v37, vcc_lo, v37, s0
	v_add_co_ci_u32_e32 v38, vcc_lo, s1, v38, vcc_lo
	v_add_co_u32 v41, vcc_lo, 0x2800, v242
	v_add_co_ci_u32_e32 v42, vcc_lo, 0, v24, vcc_lo
	;; [unrolled: 2-line block ×4, first 2 shown]
	global_load_dwordx4 v[113:116], v[22:23], off offset:176
	global_load_dwordx4 v[37:40], v[37:38], off
	s_clause 0x1
	global_load_dwordx4 v[117:120], v[41:42], off offset:1408
	global_load_dwordx4 v[121:124], v[43:44], off offset:1040
	global_load_dwordx4 v[41:44], v[0:1], off
	v_cmp_gt_u16_e32 vcc_lo, 0x5b, v83
	s_waitcnt vmcnt(12)
	v_mul_f64 v[22:23], v[4:5], v[86:87]
	s_waitcnt vmcnt(11)
	v_mul_f64 v[47:48], v[8:9], v[111:112]
	v_mul_f64 v[45:46], v[2:3], v[86:87]
	;; [unrolled: 1-line block ×3, first 2 shown]
	s_waitcnt vmcnt(10)
	v_mul_f64 v[51:52], v[12:13], v[106:107]
	v_mul_f64 v[53:54], v[10:11], v[106:107]
	v_fma_f64 v[2:3], v[2:3], v[84:85], v[22:23]
	s_waitcnt vmcnt(9)
	v_mul_f64 v[55:56], v[16:17], v[98:99]
	s_waitcnt vmcnt(8)
	v_mul_f64 v[59:60], v[20:21], v[102:103]
	;; [unrolled: 2-line block ×4, first 2 shown]
	v_mul_f64 v[57:58], v[14:15], v[98:99]
	v_mul_f64 v[61:62], v[18:19], v[102:103]
	;; [unrolled: 1-line block ×4, first 2 shown]
	buffer_store_dword v84, off, s[48:51], 0 offset:36 ; 4-byte Folded Spill
	buffer_store_dword v85, off, s[48:51], 0 offset:40 ; 4-byte Folded Spill
	;; [unrolled: 1-line block ×4, first 2 shown]
	v_fma_f64 v[6:7], v[6:7], v[109:110], v[47:48]
	buffer_store_dword v109, off, s[48:51], 0 offset:132 ; 4-byte Folded Spill
	buffer_store_dword v110, off, s[48:51], 0 offset:136 ; 4-byte Folded Spill
	;; [unrolled: 1-line block ×4, first 2 shown]
	v_fma_f64 v[10:11], v[10:11], v[104:105], v[51:52]
	buffer_store_dword v104, off, s[48:51], 0 offset:116 ; 4-byte Folded Spill
	buffer_store_dword v105, off, s[48:51], 0 offset:120 ; 4-byte Folded Spill
	;; [unrolled: 1-line block ×4, first 2 shown]
	s_waitcnt vmcnt(4)
	v_mul_f64 v[71:72], v[35:36], v[115:116]
	v_mul_f64 v[73:74], v[33:34], v[115:116]
	s_waitcnt vmcnt(2)
	v_mul_f64 v[75:76], v[39:40], v[119:120]
	v_mul_f64 v[77:78], v[37:38], v[119:120]
	;; [unrolled: 3-line block ×3, first 2 shown]
	v_fma_f64 v[14:15], v[14:15], v[96:97], v[55:56]
	buffer_store_dword v96, off, s[48:51], 0 offset:84 ; 4-byte Folded Spill
	buffer_store_dword v97, off, s[48:51], 0 offset:88 ; 4-byte Folded Spill
	buffer_store_dword v98, off, s[48:51], 0 offset:92 ; 4-byte Folded Spill
	buffer_store_dword v99, off, s[48:51], 0 offset:96 ; 4-byte Folded Spill
	v_fma_f64 v[18:19], v[18:19], v[100:101], v[59:60]
	buffer_store_dword v100, off, s[48:51], 0 offset:100 ; 4-byte Folded Spill
	buffer_store_dword v101, off, s[48:51], 0 offset:104 ; 4-byte Folded Spill
	buffer_store_dword v102, off, s[48:51], 0 offset:108 ; 4-byte Folded Spill
	buffer_store_dword v103, off, s[48:51], 0 offset:112 ; 4-byte Folded Spill
	;; [unrolled: 5-line block ×7, first 2 shown]
	s_load_dwordx2 s[6:7], s[4:5], 0x38
	s_load_dwordx4 s[8:11], s[2:3], 0x0
	v_fma_f64 v[4:5], v[4:5], v[84:85], -v[45:46]
	v_fma_f64 v[8:9], v[8:9], v[109:110], -v[49:50]
	v_fma_f64 v[12:13], v[12:13], v[104:105], -v[53:54]
	v_fma_f64 v[16:17], v[16:17], v[96:97], -v[57:58]
	v_fma_f64 v[20:21], v[20:21], v[100:101], -v[61:62]
	v_fma_f64 v[27:28], v[27:28], v[92:93], -v[65:66]
	ds_write_b128 v255, v[2:5]
	ds_write_b128 v255, v[6:9] offset:16016
	ds_write_b128 v255, v[10:13] offset:2912
	;; [unrolled: 1-line block ×5, first 2 shown]
	v_fma_f64 v[31:32], v[31:32], v[88:89], -v[69:70]
	v_fma_f64 v[35:36], v[35:36], v[113:114], -v[73:74]
	v_fma_f64 v[39:40], v[39:40], v[117:118], -v[77:78]
	v_fma_f64 v[43:44], v[43:44], v[121:122], -v[81:82]
	ds_write_b128 v255, v[29:32] offset:8736
	ds_write_b128 v255, v[33:36] offset:24752
	;; [unrolled: 1-line block ×4, first 2 shown]
	s_and_saveexec_b32 s2, vcc_lo
	s_cbranch_execz .LBB0_3
; %bb.2:
	v_add_co_u32 v0, s0, v0, s0
	v_add_co_ci_u32_e64 v1, s0, s1, v1, s0
	v_add_co_u32 v8, s0, 0x7000, v242
	v_add_co_ci_u32_e64 v9, s0, 0, v24, s0
	;; [unrolled: 2-line block ×3, first 2 shown]
	global_load_dwordx4 v[0:3], v[0:1], off
	s_clause 0x1
	buffer_load_dword v4, off, s[48:51], 0 offset:20
	buffer_load_dword v5, off, s[48:51], 0 offset:24
	s_waitcnt vmcnt(0)
	s_clause 0x1
	global_load_dwordx4 v[4:7], v[4:5], off offset:224
	global_load_dwordx4 v[8:11], v[8:9], off offset:1904
	global_load_dwordx4 v[12:15], v[12:13], off
	s_waitcnt vmcnt(2)
	v_mul_f64 v[16:17], v[2:3], v[6:7]
	v_mul_f64 v[6:7], v[0:1], v[6:7]
	s_waitcnt vmcnt(0)
	v_mul_f64 v[18:19], v[14:15], v[10:11]
	v_mul_f64 v[10:11], v[12:13], v[10:11]
	v_fma_f64 v[0:1], v[0:1], v[4:5], v[16:17]
	v_fma_f64 v[2:3], v[2:3], v[4:5], -v[6:7]
	v_fma_f64 v[4:5], v[12:13], v[8:9], v[18:19]
	v_fma_f64 v[6:7], v[14:15], v[8:9], -v[10:11]
	ds_write_b128 v255, v[0:3] offset:14560
	ds_write_b128 v255, v[4:7] offset:30576
.LBB0_3:
	s_or_b32 exec_lo, exec_lo, s2
	s_waitcnt lgkmcnt(0)
	s_waitcnt_vscnt null, 0x0
	s_barrier
	buffer_gl0_inv
	ds_read_b128 v[40:43], v255
	ds_read_b128 v[44:47], v255 offset:2912
	ds_read_b128 v[72:75], v255 offset:18928
	;; [unrolled: 1-line block ×9, first 2 shown]
                                        ; implicit-def: $vgpr84_vgpr85
                                        ; implicit-def: $vgpr68_vgpr69
	s_and_saveexec_b32 s0, vcc_lo
	s_cbranch_execz .LBB0_5
; %bb.4:
	ds_read_b128 v[84:87], v255 offset:14560
	ds_read_b128 v[68:71], v255 offset:30576
.LBB0_5:
	s_or_b32 exec_lo, exec_lo, s0
	s_waitcnt lgkmcnt(3)
	v_add_f64 v[88:89], v[40:41], -v[80:81]
	v_add_f64 v[90:91], v[42:43], -v[82:83]
	;; [unrolled: 1-line block ×6, first 2 shown]
	s_waitcnt lgkmcnt(1)
	v_add_f64 v[52:53], v[56:57], -v[52:53]
	v_add_f64 v[54:55], v[58:59], -v[54:55]
	s_waitcnt lgkmcnt(0)
	v_add_f64 v[72:73], v[76:77], -v[48:49]
	v_add_f64 v[74:75], v[78:79], -v[50:51]
	;; [unrolled: 1-line block ×4, first 2 shown]
	s_load_dwordx2 s[2:3], s[4:5], 0x8
	v_add_co_u32 v25, null, 0xb6, v108
	v_lshlrev_b16 v0, 1, v108
	v_mov_b32_e32 v1, 4
	v_add_co_u32 v2, null, 0x38e, v108
	v_lshlrev_b32_e32 v3, 5, v108
	s_waitcnt lgkmcnt(0)
	v_lshlrev_b32_sdwa v0, v1, v0 dst_sel:DWORD dst_unused:UNUSED_PAD src0_sel:DWORD src1_sel:WORD_0
	v_fma_f64 v[48:49], v[40:41], 2.0, -v[88:89]
	v_fma_f64 v[50:51], v[42:43], 2.0, -v[90:91]
	;; [unrolled: 1-line block ×12, first 2 shown]
	v_lshlrev_b32_e32 v1, 5, v25
	v_lshlrev_b32_e32 v2, 5, v2
	s_barrier
	buffer_gl0_inv
	buffer_store_dword v2, off, s[48:51], 0 offset:508 ; 4-byte Folded Spill
	ds_write_b128 v0, v[88:91] offset:16
	ds_write_b128 v1, v[80:83] offset:16
	;; [unrolled: 1-line block ×3, first 2 shown]
	buffer_store_dword v0, off, s[48:51], 0 offset:492 ; 4-byte Folded Spill
	buffer_store_dword v1, off, s[48:51], 0 offset:500 ; 4-byte Folded Spill
	ds_write_b128 v0, v[48:51]
	ds_write_b128 v1, v[92:95]
	ds_write_b128 v3, v[64:67] offset:11648
	ds_write_b128 v3, v[68:71] offset:17472
	;; [unrolled: 1-line block ×4, first 2 shown]
	buffer_store_dword v3, off, s[48:51], 0 offset:516 ; 4-byte Folded Spill
	ds_write_b128 v3, v[72:75] offset:23312
	s_and_saveexec_b32 s0, vcc_lo
	s_cbranch_execz .LBB0_7
; %bb.6:
	buffer_load_dword v0, off, s[48:51], 0 offset:508 ; 4-byte Folded Reload
	s_waitcnt vmcnt(0)
	ds_write_b128 v0, v[96:99]
	ds_write_b128 v0, v[100:103] offset:16
.LBB0_7:
	s_or_b32 exec_lo, exec_lo, s0
	v_cmp_gt_u16_e64 s0, 0x9a, v108
	s_waitcnt lgkmcnt(0)
	s_waitcnt_vscnt null, 0x0
	s_barrier
	buffer_gl0_inv
                                        ; implicit-def: $vgpr136_vgpr137
	s_and_saveexec_b32 s1, s0
	s_cbranch_execz .LBB0_9
; %bb.8:
	ds_read_b128 v[48:51], v255
	ds_read_b128 v[88:91], v255 offset:2464
	ds_read_b128 v[92:95], v255 offset:4928
	;; [unrolled: 1-line block ×12, first 2 shown]
.LBB0_9:
	s_or_b32 exec_lo, exec_lo, s1
	v_and_b32_e32 v0, 1, v108
	s_mov_b32 s23, 0xbfddbe06
	s_mov_b32 s22, 0x4267c47c
	;; [unrolled: 1-line block ×4, first 2 shown]
	buffer_store_dword v0, off, s[48:51], 0 offset:196 ; 4-byte Folded Spill
	v_mul_u32_u24_e32 v0, 12, v0
	s_mov_b32 s5, 0x3fec55a7
	s_mov_b32 s25, 0xbfea55e2
	;; [unrolled: 1-line block ×4, first 2 shown]
	v_lshlrev_b32_e32 v0, 4, v0
	s_mov_b32 s28, 0x66966769
	s_mov_b32 s29, 0xbfefc445
	s_mov_b32 s16, 0xebaa3ed8
	s_clause 0xb
	global_load_dwordx4 v[26:29], v0, s[2:3]
	global_load_dwordx4 v[121:124], v0, s[2:3] offset:176
	global_load_dwordx4 v[117:120], v0, s[2:3] offset:16
	;; [unrolled: 1-line block ×11, first 2 shown]
	s_mov_b32 s17, 0x3fbedb7d
	s_mov_b32 s26, 0x2ef20147
	;; [unrolled: 1-line block ×19, first 2 shown]
	s_waitcnt vmcnt(11) lgkmcnt(11)
	v_mul_f64 v[0:1], v[88:89], v[28:29]
	s_waitcnt vmcnt(10) lgkmcnt(0)
	v_mul_f64 v[2:3], v[136:137], v[123:124]
	v_mul_f64 v[4:5], v[90:91], v[28:29]
	;; [unrolled: 1-line block ×3, first 2 shown]
	s_waitcnt vmcnt(9)
	v_mul_f64 v[8:9], v[94:95], v[119:120]
	s_waitcnt vmcnt(8)
	v_mul_f64 v[12:13], v[100:101], v[115:116]
	v_mul_f64 v[10:11], v[92:93], v[119:120]
	;; [unrolled: 1-line block ×3, first 2 shown]
	s_waitcnt vmcnt(7)
	v_mul_f64 v[16:17], v[82:83], v[111:112]
	s_waitcnt vmcnt(6)
	v_mul_f64 v[20:21], v[98:99], v[106:107]
	;; [unrolled: 2-line block ×3, first 2 shown]
	v_mul_f64 v[18:19], v[80:81], v[111:112]
	s_waitcnt vmcnt(1)
	v_mul_f64 v[30:31], v[52:53], v[34:35]
	v_fma_f64 v[0:1], v[90:91], v[26:27], v[0:1]
	v_fma_f64 v[90:91], v[138:139], v[121:122], v[2:3]
	buffer_store_dword v26, off, s[48:51], 0 offset:428 ; 4-byte Folded Spill
	buffer_store_dword v27, off, s[48:51], 0 offset:432 ; 4-byte Folded Spill
	;; [unrolled: 1-line block ×8, first 2 shown]
	v_mul_f64 v[28:29], v[62:63], v[42:43]
	v_fma_f64 v[156:157], v[66:67], v[76:77], v[22:23]
	v_fma_f64 v[154:155], v[60:61], v[40:41], -v[28:29]
	s_waitcnt vmcnt(0)
	v_mul_f64 v[28:29], v[56:57], v[46:47]
	v_fma_f64 v[2:3], v[88:89], v[26:27], -v[4:5]
	v_fma_f64 v[88:89], v[136:137], v[121:122], -v[6:7]
	v_fma_f64 v[6:7], v[92:93], v[117:118], -v[8:9]
	buffer_store_dword v117, off, s[48:51], 0 offset:460 ; 4-byte Folded Spill
	buffer_store_dword v118, off, s[48:51], 0 offset:464 ; 4-byte Folded Spill
	;; [unrolled: 1-line block ×4, first 2 shown]
	v_fma_f64 v[92:93], v[102:103], v[113:114], v[12:13]
	buffer_store_dword v113, off, s[48:51], 0 offset:444 ; 4-byte Folded Spill
	buffer_store_dword v114, off, s[48:51], 0 offset:448 ; 4-byte Folded Spill
	;; [unrolled: 1-line block ×4, first 2 shown]
	v_mul_f64 v[4:5], v[96:97], v[106:107]
	v_mul_f64 v[26:27], v[66:67], v[78:79]
	;; [unrolled: 1-line block ×4, first 2 shown]
	v_add_f64 v[136:137], v[0:1], -v[90:91]
	v_add_f64 v[160:161], v[2:3], v[88:89]
	v_mul_f64 v[162:163], v[136:137], s[22:23]
	v_mul_f64 v[245:246], v[136:137], s[24:25]
	;; [unrolled: 1-line block ×3, first 2 shown]
	v_fma_f64 v[152:153], v[94:95], v[117:118], v[10:11]
	v_mul_f64 v[10:11], v[72:73], v[86:87]
	v_fma_f64 v[94:95], v[100:101], v[113:114], -v[14:15]
	v_fma_f64 v[100:101], v[80:81], v[109:110], -v[16:17]
	buffer_store_dword v109, off, s[48:51], 0 offset:412 ; 4-byte Folded Spill
	buffer_store_dword v110, off, s[48:51], 0 offset:416 ; 4-byte Folded Spill
	buffer_store_dword v111, off, s[48:51], 0 offset:420 ; 4-byte Folded Spill
	buffer_store_dword v112, off, s[48:51], 0 offset:424 ; 4-byte Folded Spill
	v_fma_f64 v[80:81], v[96:97], v[104:105], -v[20:21]
	buffer_store_dword v104, off, s[48:51], 0 offset:396 ; 4-byte Folded Spill
	buffer_store_dword v105, off, s[48:51], 0 offset:400 ; 4-byte Folded Spill
	;; [unrolled: 1-line block ×12, first 2 shown]
	v_mul_f64 v[20:21], v[54:55], v[34:35]
	v_mul_f64 v[16:17], v[68:69], v[38:39]
	;; [unrolled: 1-line block ×3, first 2 shown]
	v_add_f64 v[168:169], v[152:153], v[92:93]
	v_add_f64 v[106:107], v[100:101], -v[80:81]
	v_mul_f64 v[200:201], v[106:107], s[34:35]
	v_mul_f64 v[218:219], v[106:107], s[40:41]
	v_fma_f64 v[102:103], v[82:83], v[109:110], v[18:19]
	v_mul_f64 v[18:19], v[74:75], v[86:87]
	v_fma_f64 v[82:83], v[98:99], v[104:105], v[4:5]
	v_fma_f64 v[14:15], v[64:65], v[76:77], -v[26:27]
	v_mul_f64 v[26:27], v[58:59], v[46:47]
	v_fma_f64 v[158:159], v[62:63], v[40:41], v[8:9]
	v_fma_f64 v[62:63], v[68:69], v[36:37], -v[12:13]
	buffer_store_dword v36, off, s[48:51], 0 offset:220 ; 4-byte Folded Spill
	buffer_store_dword v37, off, s[48:51], 0 offset:224 ; 4-byte Folded Spill
	;; [unrolled: 1-line block ×4, first 2 shown]
	v_fma_f64 v[4:5], v[74:75], v[84:85], v[10:11]
	buffer_store_dword v84, off, s[48:51], 0 offset:380 ; 4-byte Folded Spill
	buffer_store_dword v85, off, s[48:51], 0 offset:384 ; 4-byte Folded Spill
	;; [unrolled: 1-line block ×4, first 2 shown]
	v_fma_f64 v[12:13], v[52:53], v[32:33], -v[20:21]
	buffer_store_dword v32, off, s[48:51], 0 offset:204 ; 4-byte Folded Spill
	buffer_store_dword v33, off, s[48:51], 0 offset:208 ; 4-byte Folded Spill
	;; [unrolled: 1-line block ×4, first 2 shown]
	v_add_f64 v[76:77], v[152:153], -v[92:93]
	v_add_f64 v[20:21], v[6:7], v[94:95]
	v_add_f64 v[86:87], v[6:7], -v[94:95]
	v_mul_f64 v[68:69], v[106:107], s[28:29]
	v_add_f64 v[104:105], v[102:103], -v[82:83]
	v_fma_f64 v[10:11], v[56:57], v[44:45], -v[26:27]
	buffer_store_dword v44, off, s[48:51], 0 offset:300 ; 4-byte Folded Spill
	buffer_store_dword v45, off, s[48:51], 0 offset:304 ; 4-byte Folded Spill
	;; [unrolled: 1-line block ×6, first 2 shown]
	s_waitcnt_vscnt null, 0x0
	v_add_f64 v[110:111], v[156:157], -v[4:5]
	s_barrier
	v_add_f64 v[132:133], v[62:63], -v[12:13]
	buffer_gl0_inv
	v_mul_f64 v[22:23], v[76:77], s[24:25]
	v_mul_f64 v[208:209], v[76:77], s[26:27]
	;; [unrolled: 1-line block ×12, first 2 shown]
	v_add_f64 v[128:129], v[154:155], -v[10:11]
	v_mul_f64 v[216:217], v[104:105], s[40:41]
	v_mul_f64 v[251:252], v[104:105], s[24:25]
	;; [unrolled: 1-line block ×6, first 2 shown]
	v_fma_f64 v[26:27], v[20:21], s[12:13], v[22:23]
	v_mul_f64 v[202:203], v[132:133], s[26:27]
	v_fma_f64 v[78:79], v[168:169], s[20:21], -v[230:231]
	v_fma_f64 v[112:113], v[168:169], s[18:19], -v[243:244]
	v_mul_f64 v[178:179], v[128:129], s[36:37]
	v_mul_f64 v[196:197], v[128:129], s[24:25]
	v_fma_f64 v[8:9], v[70:71], v[36:37], v[16:17]
	v_add_f64 v[70:71], v[102:103], v[82:83]
	v_fma_f64 v[60:61], v[72:73], v[84:85], -v[18:19]
	v_fma_f64 v[18:19], v[160:161], s[4:5], v[162:163]
	v_add_f64 v[84:85], v[2:3], -v[88:89]
	v_fma_f64 v[16:17], v[54:55], v[32:33], v[30:31]
	v_add_f64 v[54:55], v[100:101], v[80:81]
	v_add_f64 v[36:37], v[154:155], v[10:11]
	v_mul_f64 v[72:73], v[128:129], s[30:31]
	v_fma_f64 v[52:53], v[58:59], v[44:45], v[28:29]
	v_fma_f64 v[28:29], v[168:169], s[12:13], -v[164:165]
	v_add_f64 v[58:59], v[156:157], v[4:5]
	v_add_f64 v[184:185], v[0:1], v[90:91]
	;; [unrolled: 1-line block ×4, first 2 shown]
	v_mul_f64 v[186:187], v[84:85], s[22:23]
	v_add_f64 v[116:117], v[14:15], -v[60:61]
	v_add_f64 v[130:131], v[8:9], -v[16:17]
	v_mul_f64 v[247:248], v[84:85], s[24:25]
	v_fma_f64 v[44:45], v[168:169], s[14:15], -v[212:213]
	s_mov_b32 s23, 0x3fddbe06
	v_mov_b32_e32 v90, v108
	v_mul_f64 v[170:171], v[132:133], s[22:23]
	v_mul_f64 v[204:205], v[110:111], s[22:23]
	;; [unrolled: 1-line block ×8, first 2 shown]
	buffer_store_dword v90, off, s[48:51], 0 ; 4-byte Folded Spill
	v_add_f64 v[138:139], v[158:159], -v[52:53]
	v_add_f64 v[74:75], v[158:159], v[52:53]
	v_lshrrev_b32_e32 v90, 1, v90
	v_add_f64 v[18:19], v[26:27], v[18:19]
	v_fma_f64 v[26:27], v[184:185], s[4:5], -v[186:187]
	v_mul_f64 v[56:57], v[116:117], s[26:27]
	v_mul_f64 v[192:193], v[116:117], s[38:39]
	;; [unrolled: 1-line block ×6, first 2 shown]
	s_mov_b32 s39, 0x3fea55e2
	s_mov_b32 s38, s24
	v_mul_f64 v[194:195], v[130:131], s[26:27]
	v_mul_f64 v[180:181], v[130:131], s[38:39]
	;; [unrolled: 1-line block ×3, first 2 shown]
	buffer_store_dword v90, off, s[48:51], 0 offset:200 ; 4-byte Folded Spill
	v_mul_f64 v[32:33], v[138:139], s[30:31]
	v_mul_f64 v[176:177], v[138:139], s[36:37]
	;; [unrolled: 1-line block ×4, first 2 shown]
	v_add_f64 v[26:27], v[50:51], v[26:27]
	v_add_f64 v[26:27], v[28:29], v[26:27]
	v_fma_f64 v[28:29], v[54:55], s[16:17], v[38:39]
	v_add_f64 v[18:19], v[28:29], v[18:19]
	v_fma_f64 v[28:29], v[70:71], s[16:17], -v[68:69]
	v_add_f64 v[26:27], v[28:29], v[26:27]
	v_mul_f64 v[28:29], v[110:111], s[26:27]
	v_fma_f64 v[30:31], v[34:35], s[14:15], v[28:29]
	v_add_f64 v[18:19], v[30:31], v[18:19]
	v_fma_f64 v[30:31], v[58:59], s[14:15], -v[56:57]
	v_add_f64 v[26:27], v[30:31], v[26:27]
	v_fma_f64 v[30:31], v[36:37], s[18:19], v[32:33]
	v_add_f64 v[30:31], v[30:31], v[18:19]
	v_fma_f64 v[18:19], v[74:75], s[18:19], -v[72:73]
	v_add_f64 v[40:41], v[18:19], v[26:27]
	v_add_f64 v[26:27], v[62:63], v[12:13]
	v_mul_f64 v[18:19], v[130:131], s[34:35]
	v_fma_f64 v[42:43], v[26:27], s[20:21], v[18:19]
	v_add_f64 v[140:141], v[42:43], v[30:31]
	v_add_f64 v[30:31], v[8:9], v[16:17]
	v_fma_f64 v[42:43], v[30:31], s[20:21], -v[126:127]
	v_add_f64 v[142:143], v[42:43], v[40:41]
	v_fma_f64 v[40:41], v[160:161], s[12:13], v[245:246]
	v_fma_f64 v[42:43], v[20:21], s[14:15], v[208:209]
	v_add_f64 v[40:41], v[48:49], v[40:41]
	v_add_f64 v[40:41], v[42:43], v[40:41]
	v_fma_f64 v[42:43], v[184:185], s[12:13], -v[247:248]
	v_add_f64 v[42:43], v[50:51], v[42:43]
	v_add_f64 v[42:43], v[44:45], v[42:43]
	v_fma_f64 v[44:45], v[54:55], s[20:21], v[198:199]
	v_add_f64 v[40:41], v[44:45], v[40:41]
	v_fma_f64 v[44:45], v[70:71], s[20:21], -v[200:201]
	v_add_f64 v[42:43], v[44:45], v[42:43]
	v_fma_f64 v[44:45], v[34:35], s[18:19], v[188:189]
	v_add_f64 v[40:41], v[44:45], v[40:41]
	v_fma_f64 v[44:45], v[58:59], s[18:19], -v[192:193]
	;; [unrolled: 4-line block ×4, first 2 shown]
	v_fma_f64 v[44:45], v[20:21], s[20:21], v[220:221]
	v_add_f64 v[66:67], v[40:41], v[42:43]
	v_mul_f64 v[40:41], v[136:137], s[28:29]
	v_fma_f64 v[42:43], v[160:161], s[16:17], v[40:41]
	v_add_f64 v[42:43], v[48:49], v[42:43]
	v_add_f64 v[42:43], v[44:45], v[42:43]
	v_mul_f64 v[44:45], v[84:85], s[28:29]
	s_mov_b32 s29, 0x3fcea1e5
	s_mov_b32 s28, s34
	v_mul_f64 v[210:211], v[138:139], s[28:29]
	v_mul_f64 v[214:215], v[128:129], s[28:29]
	;; [unrolled: 1-line block ×4, first 2 shown]
	v_fma_f64 v[46:47], v[184:185], s[16:17], -v[44:45]
	v_add_f64 v[46:47], v[50:51], v[46:47]
	v_add_f64 v[46:47], v[78:79], v[46:47]
	v_fma_f64 v[78:79], v[54:55], s[14:15], v[216:217]
	v_add_f64 v[42:43], v[78:79], v[42:43]
	v_fma_f64 v[78:79], v[70:71], s[14:15], -v[218:219]
	v_add_f64 v[46:47], v[78:79], v[46:47]
	v_fma_f64 v[78:79], v[34:35], s[4:5], v[204:205]
	v_add_f64 v[42:43], v[78:79], v[42:43]
	v_fma_f64 v[78:79], v[58:59], s[4:5], -v[206:207]
	;; [unrolled: 4-line block ×4, first 2 shown]
	v_fma_f64 v[78:79], v[20:21], s[18:19], v[240:241]
	v_add_f64 v[98:99], v[42:43], v[46:47]
	v_mul_f64 v[46:47], v[136:137], s[26:27]
	v_fma_f64 v[42:43], v[160:161], s[14:15], v[46:47]
	v_add_f64 v[42:43], v[48:49], v[42:43]
	v_add_f64 v[42:43], v[78:79], v[42:43]
	v_mul_f64 v[78:79], v[84:85], s[26:27]
	v_fma_f64 v[84:85], v[184:185], s[20:21], -v[124:125]
	v_fma_f64 v[108:109], v[184:185], s[14:15], -v[78:79]
	v_add_f64 v[84:85], v[50:51], v[84:85]
	v_add_f64 v[108:109], v[50:51], v[108:109]
	;; [unrolled: 1-line block ×3, first 2 shown]
	v_fma_f64 v[112:113], v[54:55], s[4:5], v[232:233]
	v_add_f64 v[42:43], v[112:113], v[42:43]
	v_fma_f64 v[112:113], v[70:71], s[4:5], -v[234:235]
	v_add_f64 v[108:109], v[112:113], v[108:109]
	v_fma_f64 v[112:113], v[34:35], s[16:17], v[222:223]
	v_add_f64 v[42:43], v[112:113], v[42:43]
	v_fma_f64 v[112:113], v[58:59], s[16:17], -v[224:225]
	v_add_f64 v[108:109], v[112:113], v[108:109]
	;; [unrolled: 4-line block ×3, first 2 shown]
	v_fma_f64 v[112:113], v[26:27], s[12:13], v[180:181]
	v_add_f64 v[144:145], v[112:113], v[42:43]
	v_fma_f64 v[42:43], v[30:31], s[12:13], -v[182:183]
	v_fma_f64 v[112:113], v[168:169], s[16:17], -v[253:254]
	v_add_f64 v[146:147], v[42:43], v[108:109]
	v_fma_f64 v[42:43], v[160:161], s[18:19], v[118:119]
	v_fma_f64 v[108:109], v[20:21], s[16:17], v[249:250]
	v_add_f64 v[42:43], v[48:49], v[42:43]
	v_add_f64 v[42:43], v[108:109], v[42:43]
	v_fma_f64 v[108:109], v[184:185], s[18:19], -v[120:121]
	v_add_f64 v[108:109], v[50:51], v[108:109]
	v_add_f64 v[108:109], v[112:113], v[108:109]
	v_fma_f64 v[112:113], v[54:55], s[12:13], v[251:252]
	v_add_f64 v[112:113], v[112:113], v[42:43]
	v_mul_f64 v[42:43], v[106:107], s[24:25]
	v_fma_f64 v[114:115], v[70:71], s[12:13], -v[42:43]
	v_add_f64 v[108:109], v[114:115], v[108:109]
	v_fma_f64 v[114:115], v[34:35], s[20:21], v[236:237]
	v_add_f64 v[112:113], v[114:115], v[112:113]
	v_fma_f64 v[114:115], v[58:59], s[20:21], -v[238:239]
	v_add_f64 v[108:109], v[114:115], v[108:109]
	v_fma_f64 v[114:115], v[36:37], s[4:5], v[226:227]
	v_add_f64 v[112:113], v[114:115], v[112:113]
	;; [unrolled: 4-line block ×3, first 2 shown]
	v_fma_f64 v[112:113], v[30:31], s[14:15], -v[202:203]
	v_mul_f64 v[114:115], v[86:87], s[22:23]
	v_add_f64 v[150:151], v[112:113], v[108:109]
	v_mul_f64 v[108:109], v[76:77], s[22:23]
	v_fma_f64 v[76:77], v[160:161], s[20:21], v[122:123]
	v_fma_f64 v[86:87], v[168:169], s[4:5], -v[114:115]
	v_fma_f64 v[112:113], v[20:21], s[4:5], v[108:109]
	v_add_f64 v[76:77], v[48:49], v[76:77]
	v_add_f64 v[84:85], v[86:87], v[84:85]
	v_fma_f64 v[86:87], v[54:55], s[18:19], v[104:105]
	v_add_f64 v[76:77], v[112:113], v[76:77]
	v_mul_f64 v[112:113], v[106:107], s[30:31]
	v_add_f64 v[86:87], v[86:87], v[76:77]
	v_fma_f64 v[76:77], v[70:71], s[18:19], -v[112:113]
	v_add_f64 v[84:85], v[76:77], v[84:85]
	v_mul_f64 v[76:77], v[110:111], s[38:39]
	v_fma_f64 v[106:107], v[34:35], s[12:13], v[76:77]
	v_add_f64 v[106:107], v[106:107], v[86:87]
	v_mul_f64 v[86:87], v[116:117], s[38:39]
	v_fma_f64 v[110:111], v[58:59], s[12:13], -v[86:87]
	v_add_f64 v[116:117], v[110:111], v[84:85]
	v_mul_f64 v[84:85], v[138:139], s[26:27]
	v_fma_f64 v[110:111], v[36:37], s[14:15], v[84:85]
	v_add_f64 v[134:135], v[110:111], v[106:107]
	v_mul_f64 v[110:111], v[128:129], s[26:27]
	v_fma_f64 v[106:107], v[74:75], s[14:15], -v[110:111]
	v_add_f64 v[128:129], v[106:107], v[116:117]
	v_mul_f64 v[106:107], v[130:131], s[36:37]
	v_mul_f64 v[116:117], v[132:133], s[36:37]
	v_fma_f64 v[130:131], v[26:27], s[16:17], v[106:107]
	v_add_f64 v[136:137], v[130:131], v[134:135]
	v_fma_f64 v[130:131], v[30:31], s[16:17], -v[116:117]
	v_add_f64 v[138:139], v[130:131], v[128:129]
	s_and_saveexec_b32 s1, s0
	s_cbranch_execz .LBB0_11
; %bb.10:
	v_add_f64 v[2:3], v[48:49], v[2:3]
	v_mul_f64 v[128:129], v[184:185], s[20:21]
	v_add_f64 v[0:1], v[50:51], v[0:1]
	v_mul_f64 v[134:135], v[160:161], s[4:5]
	v_mul_f64 v[132:133], v[184:185], s[4:5]
	;; [unrolled: 1-line block ×3, first 2 shown]
	v_add_f64 v[2:3], v[2:3], v[6:7]
	v_mul_f64 v[6:7], v[168:169], s[4:5]
	v_add_f64 v[124:125], v[124:125], v[128:129]
	v_mul_f64 v[128:129], v[160:161], s[20:21]
	v_add_f64 v[0:1], v[0:1], v[152:153]
	v_add_f64 v[134:135], v[134:135], -v[162:163]
	v_mul_f64 v[162:163], v[168:169], s[12:13]
	v_add_f64 v[132:133], v[186:187], v[132:133]
	v_add_f64 v[130:131], v[130:131], -v[245:246]
	v_mul_f64 v[152:153], v[168:169], s[20:21]
	v_mul_f64 v[186:187], v[54:55], s[20:21]
	v_add_f64 v[2:3], v[2:3], v[100:101]
	v_add_f64 v[6:7], v[114:115], v[6:7]
	v_mul_f64 v[114:115], v[20:21], s[4:5]
	v_add_f64 v[122:123], v[128:129], -v[122:123]
	v_mul_f64 v[128:129], v[184:185], s[18:19]
	v_add_f64 v[0:1], v[0:1], v[102:103]
	v_mul_f64 v[102:103], v[30:31], s[16:17]
	v_add_f64 v[162:163], v[164:165], v[162:163]
	;; [unrolled: 2-line block ×4, first 2 shown]
	v_add_f64 v[152:153], v[230:231], v[152:153]
	v_add_f64 v[186:187], v[186:187], -v[198:199]
	v_mul_f64 v[198:199], v[58:59], s[4:5]
	v_add_f64 v[2:3], v[2:3], v[14:15]
	v_mul_f64 v[14:15], v[70:71], s[4:5]
	v_add_f64 v[108:109], v[114:115], -v[108:109]
	v_mul_f64 v[114:115], v[70:71], s[18:19]
	v_add_f64 v[120:121], v[120:121], v[128:129]
	v_mul_f64 v[128:129], v[160:161], s[18:19]
	v_add_f64 v[0:1], v[0:1], v[156:157]
	;; [unrolled: 2-line block ×3, first 2 shown]
	v_add_f64 v[102:103], v[116:117], v[102:103]
	v_mul_f64 v[116:117], v[20:21], s[16:17]
	v_add_f64 v[22:23], v[164:165], -v[22:23]
	v_mul_f64 v[164:165], v[70:71], s[14:15]
	v_add_f64 v[6:7], v[6:7], v[124:125]
	v_add_f64 v[198:199], v[206:207], v[198:199]
	v_add_f64 v[100:101], v[100:101], -v[251:252]
	v_add_f64 v[2:3], v[2:3], v[154:155]
	v_mul_f64 v[154:155], v[34:35], s[16:17]
	v_add_f64 v[14:15], v[234:235], v[14:15]
	v_add_f64 v[112:113], v[112:113], v[114:115]
	v_mul_f64 v[114:115], v[54:55], s[18:19]
	v_add_f64 v[118:119], v[128:129], -v[118:119]
	v_mul_f64 v[128:129], v[184:185], s[14:15]
	v_add_f64 v[0:1], v[0:1], v[158:159]
	v_add_f64 v[120:121], v[50:51], v[120:121]
	v_mul_f64 v[158:159], v[54:55], s[4:5]
	v_add_f64 v[156:157], v[212:213], v[156:157]
	v_add_f64 v[116:117], v[116:117], -v[249:250]
	v_add_f64 v[164:165], v[218:219], v[164:165]
	v_add_f64 v[2:3], v[2:3], v[62:63]
	v_mul_f64 v[62:63], v[74:75], s[20:21]
	v_add_f64 v[154:155], v[154:155], -v[222:223]
	v_add_f64 v[6:7], v[112:113], v[6:7]
	v_add_f64 v[104:105], v[114:115], -v[104:105]
	v_mul_f64 v[114:115], v[74:75], s[14:15]
	v_add_f64 v[78:79], v[78:79], v[128:129]
	v_mul_f64 v[128:129], v[160:161], s[14:15]
	v_add_f64 v[0:1], v[0:1], v[8:9]
	v_add_f64 v[118:119], v[48:49], v[118:119]
	v_mul_f64 v[8:9], v[58:59], s[16:17]
	v_add_f64 v[158:159], v[158:159], -v[232:233]
	v_add_f64 v[2:3], v[2:3], v[12:13]
	v_mul_f64 v[12:13], v[36:37], s[12:13]
	v_add_f64 v[62:63], v[214:215], v[62:63]
	v_add_f64 v[110:111], v[110:111], v[114:115]
	v_mul_f64 v[114:115], v[58:59], s[12:13]
	v_add_f64 v[46:47], v[128:129], -v[46:47]
	v_mul_f64 v[128:129], v[184:185], s[16:17]
	v_add_f64 v[78:79], v[50:51], v[78:79]
	v_add_f64 v[0:1], v[0:1], v[16:17]
	;; [unrolled: 1-line block ×3, first 2 shown]
	v_mul_f64 v[16:17], v[36:37], s[4:5]
	v_add_f64 v[2:3], v[2:3], v[10:11]
	v_mul_f64 v[10:11], v[30:31], s[14:15]
	v_add_f64 v[12:13], v[12:13], -v[190:191]
	v_add_f64 v[86:87], v[86:87], v[114:115]
	v_mul_f64 v[114:115], v[26:27], s[16:17]
	v_add_f64 v[44:45], v[44:45], v[128:129]
	v_mul_f64 v[128:129], v[160:161], s[16:17]
	v_mul_f64 v[160:161], v[20:21], s[14:15]
	v_add_f64 v[46:47], v[48:49], v[46:47]
	v_add_f64 v[0:1], v[0:1], v[52:53]
	v_mul_f64 v[52:53], v[74:75], s[16:17]
	v_add_f64 v[16:17], v[16:17], -v[226:227]
	v_add_f64 v[2:3], v[2:3], v[60:61]
	v_mul_f64 v[60:61], v[26:27], s[4:5]
	v_add_f64 v[10:11], v[202:203], v[10:11]
	v_add_f64 v[6:7], v[86:87], v[6:7]
	v_add_f64 v[106:107], v[114:115], -v[106:107]
	v_mul_f64 v[114:115], v[36:37], s[14:15]
	v_add_f64 v[40:41], v[128:129], -v[40:41]
	v_mul_f64 v[128:129], v[184:185], s[12:13]
	v_mul_f64 v[184:185], v[70:71], s[20:21]
	v_add_f64 v[44:45], v[50:51], v[44:45]
	v_add_f64 v[160:161], v[160:161], -v[208:209]
	v_add_f64 v[0:1], v[0:1], v[4:5]
	v_mul_f64 v[4:5], v[36:37], s[18:19]
	v_add_f64 v[52:53], v[178:179], v[52:53]
	v_add_f64 v[2:3], v[2:3], v[80:81]
	;; [unrolled: 1-line block ×3, first 2 shown]
	v_add_f64 v[84:85], v[114:115], -v[84:85]
	v_mul_f64 v[114:115], v[34:35], s[12:13]
	v_add_f64 v[128:129], v[247:248], v[128:129]
	v_add_f64 v[184:185], v[200:201], v[184:185]
	v_mul_f64 v[200:201], v[34:35], s[4:5]
	v_add_f64 v[40:41], v[48:49], v[40:41]
	v_add_f64 v[48:49], v[48:49], v[134:135]
	v_mul_f64 v[134:135], v[20:21], s[18:19]
	v_mul_f64 v[20:21], v[20:21], s[20:21]
	v_add_f64 v[44:45], v[152:153], v[44:45]
	v_add_f64 v[4:5], v[4:5], -v[32:33]
	v_add_f64 v[0:1], v[0:1], v[82:83]
	v_add_f64 v[76:77], v[114:115], -v[76:77]
	v_mul_f64 v[114:115], v[70:71], s[12:13]
	v_add_f64 v[128:129], v[50:51], v[128:129]
	v_add_f64 v[50:51], v[50:51], v[132:133]
	v_mul_f64 v[132:133], v[168:169], s[18:19]
	v_mul_f64 v[70:71], v[70:71], s[16:17]
	v_add_f64 v[200:201], v[200:201], -v[204:205]
	v_mul_f64 v[204:205], v[58:59], s[18:19]
	v_add_f64 v[20:21], v[20:21], -v[220:221]
	v_add_f64 v[22:23], v[22:23], v[48:49]
	v_add_f64 v[48:49], v[160:161], v[130:131]
	;; [unrolled: 1-line block ×3, first 2 shown]
	v_add_f64 v[134:135], v[134:135], -v[240:241]
	v_add_f64 v[42:43], v[42:43], v[114:115]
	v_mul_f64 v[114:115], v[168:169], s[16:17]
	v_mul_f64 v[168:169], v[54:55], s[14:15]
	;; [unrolled: 1-line block ×3, first 2 shown]
	v_add_f64 v[132:133], v[243:244], v[132:133]
	v_add_f64 v[68:69], v[68:69], v[70:71]
	v_mul_f64 v[70:71], v[34:35], s[20:21]
	v_add_f64 v[192:193], v[192:193], v[204:205]
	v_mul_f64 v[204:205], v[34:35], s[18:19]
	v_mul_f64 v[34:35], v[34:35], s[14:15]
	v_add_f64 v[50:51], v[162:163], v[50:51]
	v_add_f64 v[20:21], v[20:21], v[40:41]
	;; [unrolled: 1-line block ×5, first 2 shown]
	v_add_f64 v[168:169], v[168:169], -v[216:217]
	v_add_f64 v[38:39], v[54:55], -v[38:39]
	v_mul_f64 v[54:55], v[58:59], s[20:21]
	v_mul_f64 v[58:59], v[58:59], s[14:15]
	v_add_f64 v[78:79], v[132:133], v[78:79]
	v_add_f64 v[70:71], v[70:71], -v[236:237]
	v_add_f64 v[188:189], v[204:205], -v[188:189]
	;; [unrolled: 1-line block ×3, first 2 shown]
	v_add_f64 v[50:51], v[68:69], v[50:51]
	v_mul_f64 v[34:35], v[74:75], s[4:5]
	v_add_f64 v[40:41], v[158:159], v[40:41]
	v_add_f64 v[46:47], v[100:101], v[46:47]
	;; [unrolled: 1-line block ×9, first 2 shown]
	v_mul_f64 v[122:123], v[74:75], s[12:13]
	v_mul_f64 v[74:75], v[74:75], s[18:19]
	v_add_f64 v[14:15], v[14:15], v[78:79]
	v_add_f64 v[34:35], v[228:229], v[34:35]
	;; [unrolled: 1-line block ×3, first 2 shown]
	v_mul_f64 v[108:109], v[36:37], s[20:21]
	v_add_f64 v[40:41], v[154:155], v[40:41]
	v_add_f64 v[46:47], v[70:71], v[46:47]
	v_add_f64 v[42:43], v[42:43], v[114:115]
	v_add_f64 v[20:21], v[200:201], v[20:21]
	v_add_f64 v[22:23], v[28:29], v[22:23]
	v_add_f64 v[58:59], v[104:105], v[58:59]
	v_add_f64 v[28:29], v[188:189], v[38:39]
	v_mul_f64 v[38:39], v[26:27], s[14:15]
	v_add_f64 v[72:73], v[72:73], v[74:75]
	v_add_f64 v[8:9], v[8:9], v[14:15]
	;; [unrolled: 1-line block ×3, first 2 shown]
	v_mul_f64 v[44:45], v[30:31], s[12:13]
	v_mul_f64 v[104:105], v[36:37], s[16:17]
	v_add_f64 v[74:75], v[184:185], v[120:121]
	v_add_f64 v[122:123], v[196:197], v[122:123]
	v_add_f64 v[108:109], v[108:109], -v[210:211]
	v_add_f64 v[46:47], v[16:17], v[46:47]
	v_add_f64 v[32:33], v[54:55], v[42:43]
	;; [unrolled: 1-line block ×3, first 2 shown]
	v_mul_f64 v[54:55], v[26:27], s[12:13]
	v_mul_f64 v[56:57], v[26:27], s[18:19]
	;; [unrolled: 1-line block ×3, first 2 shown]
	v_add_f64 v[48:49], v[76:77], v[58:59]
	v_mul_f64 v[50:51], v[30:31], s[18:19]
	v_mul_f64 v[58:59], v[30:31], s[4:5]
	;; [unrolled: 1-line block ×3, first 2 shown]
	v_add_f64 v[4:5], v[4:5], v[22:23]
	v_add_f64 v[12:13], v[12:13], v[20:21]
	;; [unrolled: 1-line block ×3, first 2 shown]
	v_add_f64 v[104:105], v[104:105], -v[176:177]
	v_add_f64 v[36:37], v[192:193], v[74:75]
	v_add_f64 v[14:15], v[122:123], v[14:15]
	;; [unrolled: 1-line block ×5, first 2 shown]
	v_add_f64 v[34:35], v[38:39], -v[194:195]
	v_add_f64 v[38:39], v[182:183], v[44:45]
	v_add_f64 v[26:27], v[26:27], -v[18:19]
	v_add_f64 v[44:45], v[54:55], -v[180:181]
	;; [unrolled: 1-line block ×3, first 2 shown]
	v_add_f64 v[56:57], v[170:171], v[58:59]
	v_add_f64 v[30:31], v[126:127], v[30:31]
	;; [unrolled: 1-line block ×3, first 2 shown]
	buffer_load_dword v0, off, s[48:51], 0 offset:200 ; 4-byte Folded Reload
	v_add_f64 v[50:51], v[174:175], v[50:51]
	v_add_f64 v[28:29], v[104:105], v[28:29]
	;; [unrolled: 1-line block ×3, first 2 shown]
	v_add_f64 v[52:53], v[60:61], -v[166:167]
	v_add_f64 v[48:49], v[84:85], v[48:49]
	v_add_f64 v[60:61], v[2:3], v[94:95]
	;; [unrolled: 1-line block ×6, first 2 shown]
	s_clause 0x1
	buffer_load_dword v26, off, s[48:51], 0 offset:4
	buffer_load_dword v27, off, s[48:51], 0 offset:8
	v_add_f64 v[12:13], v[54:55], v[12:13]
	v_add_f64 v[8:9], v[44:45], v[40:41]
	;; [unrolled: 1-line block ×3, first 2 shown]
	buffer_load_dword v30, off, s[48:51], 0 offset:196 ; 4-byte Folded Reload
	v_add_f64 v[4:5], v[34:35], v[46:47]
	v_add_f64 v[14:15], v[50:51], v[14:15]
	;; [unrolled: 1-line block ×4, first 2 shown]
	s_waitcnt vmcnt(3)
	v_mul_u32_u24_e32 v62, 26, v0
	v_add_f64 v[0:1], v[106:107], v[48:49]
	s_waitcnt vmcnt(1)
	v_add_f64 v[28:29], v[58:59], v[26:27]
	v_add_f64 v[26:27], v[60:61], v[88:89]
	s_waitcnt vmcnt(0)
	v_or_b32_e32 v30, v62, v30
	v_lshlrev_b32_e32 v30, 4, v30
	ds_write_b128 v30, v[136:139] offset:224
	ds_write_b128 v30, v[148:151] offset:256
	;; [unrolled: 1-line block ×11, first 2 shown]
	ds_write_b128 v30, v[26:29]
	ds_write_b128 v30, v[140:143] offset:384
.LBB0_11:
	s_or_b32 exec_lo, exec_lo, s1
	s_waitcnt lgkmcnt(0)
	s_waitcnt_vscnt null, 0x0
	s_barrier
	buffer_gl0_inv
	ds_read_b128 v[152:155], v255
	ds_read_b128 v[100:103], v255 offset:4576
	ds_read_b128 v[92:95], v255 offset:9152
	;; [unrolled: 1-line block ×6, first 2 shown]
	buffer_load_dword v70, off, s[48:51], 0 ; 4-byte Folded Reload
                                        ; implicit-def: $vgpr156_vgpr157
	s_waitcnt vmcnt(0)
	v_cmp_gt_u16_e64 s1, 0x68, v70
	s_and_saveexec_b32 s4, s1
	s_cbranch_execz .LBB0_13
; %bb.12:
	ds_read_b128 v[136:139], v255 offset:2912
	ds_read_b128 v[148:151], v255 offset:7488
	;; [unrolled: 1-line block ×7, first 2 shown]
.LBB0_13:
	s_or_b32 exec_lo, exec_lo, s4
	v_and_b32_e32 v0, 0xff, v70
	s_mov_b32 s26, 0x37e14327
	s_mov_b32 s16, 0x36b3c0b5
	;; [unrolled: 1-line block ×4, first 2 shown]
	v_mul_lo_u16 v0, 0x4f, v0
	s_mov_b32 s27, 0x3fe948f6
	s_mov_b32 s17, 0x3fac98ee
	;; [unrolled: 1-line block ×4, first 2 shown]
	v_lshrrev_b16 v26, 11, v0
	s_mov_b32 s28, 0xaaaaaaaa
	s_mov_b32 s22, 0x5476071b
	;; [unrolled: 1-line block ×4, first 2 shown]
	v_mul_lo_u16 v0, v26, 26
	s_mov_b32 s23, 0x3fe77f67
	s_mov_b32 s19, 0xbfe77f67
	;; [unrolled: 1-line block ×4, first 2 shown]
	v_sub_nc_u16 v0, v70, v0
	s_mov_b32 s15, 0xbfd5d0dc
	s_mov_b32 s14, s20
	v_and_b32_e32 v27, 0xff, v0
	v_mad_u64_u32 v[0:1], null, 0x60, v27, s[2:3]
	s_clause 0x3
	global_load_dwordx4 v[4:7], v[0:1], off offset:432
	global_load_dwordx4 v[8:11], v[0:1], off offset:416
	;; [unrolled: 1-line block ×4, first 2 shown]
	s_waitcnt vmcnt(0) lgkmcnt(5)
	v_mul_f64 v[2:3], v[102:103], v[18:19]
	v_fma_f64 v[22:23], v[100:101], v[16:17], -v[2:3]
	v_mul_f64 v[2:3], v[100:101], v[18:19]
	buffer_store_dword v16, off, s[48:51], 0 offset:316 ; 4-byte Folded Spill
	buffer_store_dword v17, off, s[48:51], 0 offset:320 ; 4-byte Folded Spill
	buffer_store_dword v18, off, s[48:51], 0 offset:324 ; 4-byte Folded Spill
	buffer_store_dword v19, off, s[48:51], 0 offset:328 ; 4-byte Folded Spill
	v_fma_f64 v[29:30], v[102:103], v[16:17], v[2:3]
	s_waitcnt lgkmcnt(4)
	v_mul_f64 v[2:3], v[94:95], v[14:15]
	v_fma_f64 v[31:32], v[92:93], v[12:13], -v[2:3]
	v_mul_f64 v[2:3], v[92:93], v[14:15]
	buffer_store_dword v12, off, s[48:51], 0 offset:284 ; 4-byte Folded Spill
	buffer_store_dword v13, off, s[48:51], 0 offset:288 ; 4-byte Folded Spill
	buffer_store_dword v14, off, s[48:51], 0 offset:292 ; 4-byte Folded Spill
	buffer_store_dword v15, off, s[48:51], 0 offset:296 ; 4-byte Folded Spill
	v_fma_f64 v[33:34], v[94:95], v[12:13], v[2:3]
	s_waitcnt lgkmcnt(3)
	;; [unrolled: 9-line block ×3, first 2 shown]
	v_mul_f64 v[2:3], v[58:59], v[6:7]
	v_fma_f64 v[39:40], v[56:57], v[4:5], -v[2:3]
	v_mul_f64 v[2:3], v[56:57], v[6:7]
	buffer_store_dword v4, off, s[48:51], 0 offset:236 ; 4-byte Folded Spill
	buffer_store_dword v5, off, s[48:51], 0 offset:240 ; 4-byte Folded Spill
	;; [unrolled: 1-line block ×4, first 2 shown]
	v_fma_f64 v[41:42], v[58:59], v[4:5], v[2:3]
	s_clause 0x1
	global_load_dwordx4 v[6:9], v[0:1], off offset:464
	global_load_dwordx4 v[2:5], v[0:1], off offset:448
	s_waitcnt vmcnt(0) lgkmcnt(1)
	v_mul_f64 v[0:1], v[54:55], v[4:5]
	v_fma_f64 v[43:44], v[52:53], v[2:3], -v[0:1]
	v_mul_f64 v[0:1], v[52:53], v[4:5]
	buffer_store_dword v2, off, s[48:51], 0 offset:332 ; 4-byte Folded Spill
	buffer_store_dword v3, off, s[48:51], 0 offset:336 ; 4-byte Folded Spill
	;; [unrolled: 1-line block ×4, first 2 shown]
	v_fma_f64 v[45:46], v[54:55], v[2:3], v[0:1]
	s_waitcnt lgkmcnt(0)
	v_mul_f64 v[0:1], v[50:51], v[8:9]
	v_fma_f64 v[52:53], v[48:49], v[6:7], -v[0:1]
	v_mul_f64 v[0:1], v[48:49], v[8:9]
	buffer_store_dword v6, off, s[48:51], 0 offset:348 ; 4-byte Folded Spill
	buffer_store_dword v7, off, s[48:51], 0 offset:352 ; 4-byte Folded Spill
	;; [unrolled: 1-line block ×4, first 2 shown]
	v_fma_f64 v[47:48], v[50:51], v[6:7], v[0:1]
	v_mov_b32_e32 v0, 0x4ec5
	v_mul_u32_u24_sdwa v0, v25, v0 dst_sel:DWORD dst_unused:UNUSED_PAD src0_sel:WORD_0 src1_sel:DWORD
	v_lshrrev_b32_e32 v28, 19, v0
	v_mul_lo_u16 v0, v28, 26
	v_sub_nc_u16 v25, v25, v0
	v_mul_lo_u16 v0, 0x60, v25
	v_mad_u16 v25, 0xb6, v28, v25
	v_and_b32_e32 v0, 0xffff, v0
	v_add_co_u32 v16, s4, s2, v0
	v_add_co_ci_u32_e64 v17, null, s3, 0, s4
	s_clause 0x3
	global_load_dwordx4 v[18:21], v[16:17], off offset:432
	global_load_dwordx4 v[4:7], v[16:17], off offset:416
	;; [unrolled: 1-line block ×4, first 2 shown]
	s_mov_b32 s4, 0x37c3f68c
	s_mov_b32 s5, 0x3fdc38aa
	s_waitcnt vmcnt(2)
	v_mul_f64 v[2:3], v[96:97], v[6:7]
	s_waitcnt vmcnt(0)
	v_mul_f64 v[0:1], v[150:151], v[10:11]
	v_fma_f64 v[12:13], v[148:149], v[8:9], -v[0:1]
	v_mul_f64 v[0:1], v[148:149], v[10:11]
	buffer_store_dword v8, off, s[48:51], 0 offset:580 ; 4-byte Folded Spill
	buffer_store_dword v9, off, s[48:51], 0 offset:584 ; 4-byte Folded Spill
	;; [unrolled: 1-line block ×4, first 2 shown]
	v_fma_f64 v[14:15], v[150:151], v[8:9], v[0:1]
	v_mul_f64 v[0:1], v[146:147], v[56:57]
	v_fma_f64 v[8:9], v[144:145], v[54:55], -v[0:1]
	v_mul_f64 v[0:1], v[144:145], v[56:57]
	buffer_store_dword v54, off, s[48:51], 0 offset:564 ; 4-byte Folded Spill
	buffer_store_dword v55, off, s[48:51], 0 offset:568 ; 4-byte Folded Spill
	;; [unrolled: 1-line block ×4, first 2 shown]
	v_fma_f64 v[10:11], v[146:147], v[54:55], v[0:1]
	v_mul_f64 v[0:1], v[98:99], v[6:7]
	v_fma_f64 v[0:1], v[96:97], v[4:5], -v[0:1]
	buffer_store_dword v4, off, s[48:51], 0 offset:548 ; 4-byte Folded Spill
	buffer_store_dword v5, off, s[48:51], 0 offset:552 ; 4-byte Folded Spill
	;; [unrolled: 1-line block ×4, first 2 shown]
	v_mul_f64 v[6:7], v[64:65], v[20:21]
	v_fma_f64 v[2:3], v[98:99], v[4:5], v[2:3]
	v_mul_f64 v[4:5], v[66:67], v[20:21]
	v_fma_f64 v[4:5], v[64:65], v[18:19], -v[4:5]
	buffer_store_dword v18, off, s[48:51], 0 offset:532 ; 4-byte Folded Spill
	buffer_store_dword v19, off, s[48:51], 0 offset:536 ; 4-byte Folded Spill
	buffer_store_dword v20, off, s[48:51], 0 offset:540 ; 4-byte Folded Spill
	buffer_store_dword v21, off, s[48:51], 0 offset:544 ; 4-byte Folded Spill
	s_clause 0x1
	global_load_dwordx4 v[54:57], v[16:17], off offset:464
	global_load_dwordx4 v[58:61], v[16:17], off offset:448
	v_fma_f64 v[6:7], v[66:67], v[18:19], v[6:7]
	s_waitcnt vmcnt(1)
	v_mul_f64 v[20:21], v[158:159], v[56:57]
	s_waitcnt vmcnt(0)
	v_mul_f64 v[16:17], v[142:143], v[60:61]
	v_mul_f64 v[18:19], v[140:141], v[60:61]
	;; [unrolled: 1-line block ×3, first 2 shown]
	v_fma_f64 v[20:21], v[156:157], v[54:55], -v[20:21]
	v_fma_f64 v[16:17], v[140:141], v[58:59], -v[16:17]
	buffer_store_dword v58, off, s[48:51], 0 offset:612 ; 4-byte Folded Spill
	buffer_store_dword v59, off, s[48:51], 0 offset:616 ; 4-byte Folded Spill
	;; [unrolled: 1-line block ×8, first 2 shown]
	v_add_f64 v[56:57], v[29:30], v[47:48]
	v_add_f64 v[29:30], v[29:30], -v[47:48]
	v_add_f64 v[47:48], v[31:32], v[43:44]
	v_add_f64 v[31:32], v[31:32], -v[43:44]
	;; [unrolled: 2-line block ×4, first 2 shown]
	v_fma_f64 v[18:19], v[142:143], v[58:59], v[18:19]
	v_fma_f64 v[49:50], v[158:159], v[54:55], v[49:50]
	v_add_f64 v[54:55], v[22:23], v[52:53]
	v_add_f64 v[22:23], v[22:23], -v[52:53]
	v_add_f64 v[51:52], v[33:34], v[45:46]
	v_add_f64 v[33:34], v[33:34], -v[45:46]
	;; [unrolled: 2-line block ×5, first 2 shown]
	v_add_f64 v[53:54], v[54:55], -v[43:44]
	v_add_f64 v[55:56], v[56:57], -v[45:46]
	;; [unrolled: 1-line block ×4, first 2 shown]
	v_add_f64 v[64:65], v[37:38], v[33:34]
	v_add_f64 v[68:69], v[37:38], -v[33:34]
	v_add_f64 v[31:32], v[31:32], -v[22:23]
	;; [unrolled: 1-line block ×5, first 2 shown]
	v_add_f64 v[22:23], v[62:63], v[22:23]
	v_mul_f64 v[62:63], v[66:67], s[24:25]
	v_add_f64 v[39:40], v[43:44], v[39:40]
	v_add_f64 v[41:42], v[45:46], v[41:42]
	v_mul_f64 v[43:44], v[53:54], s[26:27]
	v_mul_f64 v[45:46], v[55:56], s[26:27]
	;; [unrolled: 1-line block ×4, first 2 shown]
	v_add_f64 v[29:30], v[64:65], v[29:30]
	v_mul_f64 v[64:65], v[68:69], s[24:25]
	v_mul_f64 v[66:67], v[31:32], s[12:13]
	;; [unrolled: 1-line block ×3, first 2 shown]
	v_fma_f64 v[31:32], v[31:32], s[12:13], -v[62:63]
	v_add_f64 v[140:141], v[152:153], v[39:40]
	v_add_f64 v[142:143], v[154:155], v[41:42]
	v_fma_f64 v[47:48], v[47:48], s[16:17], v[43:44]
	v_fma_f64 v[51:52], v[51:52], s[16:17], v[45:46]
	v_fma_f64 v[53:54], v[58:59], s[22:23], -v[53:54]
	v_fma_f64 v[55:56], v[60:61], s[22:23], -v[55:56]
	;; [unrolled: 1-line block ×4, first 2 shown]
	v_fma_f64 v[57:58], v[35:36], s[20:21], v[62:63]
	v_fma_f64 v[59:60], v[37:38], s[20:21], v[64:65]
	v_fma_f64 v[33:34], v[33:34], s[12:13], -v[64:65]
	v_fma_f64 v[35:36], v[35:36], s[14:15], -v[66:67]
	;; [unrolled: 1-line block ×3, first 2 shown]
	v_fma_f64 v[31:32], v[22:23], s[4:5], v[31:32]
	v_fma_f64 v[39:40], v[39:40], s[28:29], v[140:141]
	;; [unrolled: 1-line block ×4, first 2 shown]
	v_add_f64 v[47:48], v[47:48], v[39:40]
	v_add_f64 v[53:54], v[53:54], v[39:40]
	;; [unrolled: 1-line block ×6, first 2 shown]
	v_fma_f64 v[43:44], v[22:23], s[4:5], v[57:58]
	v_fma_f64 v[45:46], v[29:30], s[4:5], v[59:60]
	;; [unrolled: 1-line block ×4, first 2 shown]
	v_add_f64 v[152:153], v[53:54], -v[33:34]
	v_add_f64 v[156:157], v[33:34], v[53:54]
	v_add_f64 v[154:155], v[31:32], v[55:56]
	v_add_f64 v[158:159], v[55:56], -v[31:32]
	v_add_f64 v[31:32], v[10:11], v[18:19]
	v_add_f64 v[10:11], v[10:11], -v[18:19]
	;; [unrolled: 2-line block ×4, first 2 shown]
	v_add_f64 v[162:163], v[22:23], v[41:42]
	v_add_f64 v[22:23], v[12:13], v[20:21]
	;; [unrolled: 1-line block ×3, first 2 shown]
	v_add_f64 v[12:13], v[12:13], -v[20:21]
	v_add_f64 v[20:21], v[8:9], v[16:17]
	v_add_f64 v[8:9], v[8:9], -v[16:17]
	v_add_f64 v[16:17], v[0:1], v[4:5]
	v_add_f64 v[0:1], v[4:5], -v[0:1]
	v_add_f64 v[2:3], v[6:7], -v[2:3]
	;; [unrolled: 1-line block ×4, first 2 shown]
	v_add_f64 v[166:167], v[43:44], v[51:52]
	v_add_f64 v[144:145], v[45:46], v[47:48]
	v_add_f64 v[164:165], v[47:48], -v[45:46]
	v_add_f64 v[6:7], v[31:32], v[29:30]
	v_add_f64 v[35:36], v[31:32], -v[29:30]
	;; [unrolled: 2-line block ×3, first 2 shown]
	v_add_f64 v[22:23], v[22:23], -v[16:17]
	v_add_f64 v[29:30], v[29:30], -v[18:19]
	;; [unrolled: 1-line block ×3, first 2 shown]
	v_add_f64 v[37:38], v[0:1], v[8:9]
	v_add_f64 v[39:40], v[2:3], v[10:11]
	v_add_f64 v[41:42], v[0:1], -v[8:9]
	v_add_f64 v[43:44], v[2:3], -v[10:11]
	;; [unrolled: 1-line block ×7, first 2 shown]
	v_add_f64 v[6:7], v[18:19], v[6:7]
	v_add_f64 v[4:5], v[16:17], v[4:5]
	v_mul_f64 v[16:17], v[20:21], s[16:17]
	v_add_f64 v[18:19], v[37:38], v[12:13]
	v_add_f64 v[37:38], v[39:40], v[14:15]
	v_mul_f64 v[12:13], v[22:23], s[26:27]
	v_mul_f64 v[14:15], v[29:30], s[26:27]
	;; [unrolled: 1-line block ×7, first 2 shown]
	v_add_f64 v[138:139], v[138:139], v[6:7]
	v_add_f64 v[136:137], v[136:137], v[4:5]
	v_fma_f64 v[16:17], v[33:34], s[22:23], -v[16:17]
	v_fma_f64 v[22:23], v[35:36], s[22:23], -v[22:23]
	v_fma_f64 v[45:46], v[6:7], s[28:29], v[138:139]
	v_fma_f64 v[6:7], v[20:21], s[16:17], v[12:13]
	;; [unrolled: 1-line block ×4, first 2 shown]
	v_fma_f64 v[12:13], v[33:34], s[18:19], -v[12:13]
	v_fma_f64 v[31:32], v[0:1], s[20:21], v[29:30]
	v_fma_f64 v[33:34], v[2:3], s[20:21], v[39:40]
	v_fma_f64 v[14:15], v[35:36], s[18:19], -v[14:15]
	v_fma_f64 v[29:30], v[8:9], s[12:13], -v[29:30]
	;; [unrolled: 1-line block ×5, first 2 shown]
	v_add_f64 v[10:11], v[22:23], v[45:46]
	v_add_f64 v[0:1], v[6:7], v[4:5]
	;; [unrolled: 1-line block ×5, first 2 shown]
	v_fma_f64 v[16:17], v[18:19], s[4:5], v[31:32]
	v_fma_f64 v[12:13], v[37:38], s[4:5], v[33:34]
	v_add_f64 v[8:9], v[14:15], v[45:46]
	v_fma_f64 v[22:23], v[18:19], s[4:5], v[29:30]
	v_fma_f64 v[14:15], v[37:38], s[4:5], v[35:36]
	;; [unrolled: 1-line block ×4, first 2 shown]
	v_add_f64 v[31:32], v[16:17], v[6:7]
	v_add_f64 v[29:30], v[0:1], -v[12:13]
	buffer_store_dword v29, off, s[48:51], 0 offset:4 ; 4-byte Folded Spill
	buffer_store_dword v30, off, s[48:51], 0 offset:8 ; 4-byte Folded Spill
	;; [unrolled: 1-line block ×4, first 2 shown]
	v_add_f64 v[184:185], v[14:15], v[2:3]
	v_add_f64 v[186:187], v[10:11], -v[22:23]
	v_add_f64 v[180:181], v[4:5], -v[18:19]
	v_add_f64 v[182:183], v[20:21], v[8:9]
	v_mov_b32_e32 v29, 0xb6
	s_waitcnt_vscnt null, 0x0
	s_barrier
	buffer_gl0_inv
	v_mul_u32_u24_sdwa v26, v26, v29 dst_sel:DWORD dst_unused:UNUSED_PAD src0_sel:WORD_0 src1_sel:DWORD
	v_add_lshl_u32 v26, v26, v27, 4
	ds_write_b128 v26, v[140:143]
	ds_write_b128 v26, v[144:147] offset:416
	ds_write_b128 v26, v[148:151] offset:832
	;; [unrolled: 1-line block ×5, first 2 shown]
	buffer_store_dword v26, off, s[48:51], 0 offset:528 ; 4-byte Folded Spill
	ds_write_b128 v26, v[164:167] offset:2496
	buffer_store_dword v25, off, s[48:51], 0 offset:524 ; 4-byte Folded Spill
	s_and_saveexec_b32 s4, s1
	s_cbranch_execz .LBB0_15
; %bb.14:
	v_add_f64 v[25:26], v[12:13], v[0:1]
	buffer_load_dword v1, off, s[48:51], 0 offset:524 ; 4-byte Folded Reload
	v_add_f64 v[27:28], v[6:7], -v[16:17]
	v_add_f64 v[20:21], v[8:9], -v[20:21]
	v_add_f64 v[18:19], v[18:19], v[4:5]
	v_add_f64 v[10:11], v[22:23], v[10:11]
	v_add_f64 v[8:9], v[2:3], -v[14:15]
	v_mov_b32_e32 v0, 4
	s_waitcnt vmcnt(0)
	v_lshlrev_b32_sdwa v0, v0, v1 dst_sel:DWORD dst_unused:UNUSED_PAD src0_sel:DWORD src1_sel:WORD_0
	ds_write_b128 v0, v[136:139]
	ds_write_b128 v0, v[184:187] offset:1664
	ds_write_b128 v0, v[180:183] offset:2080
	;; [unrolled: 1-line block ×5, first 2 shown]
	s_clause 0x3
	buffer_load_dword v1, off, s[48:51], 0 offset:4
	buffer_load_dword v2, off, s[48:51], 0 offset:8
	buffer_load_dword v3, off, s[48:51], 0 offset:12
	buffer_load_dword v4, off, s[48:51], 0 offset:16
	s_waitcnt vmcnt(0)
	ds_write_b128 v0, v[1:4] offset:2496
.LBB0_15:
	s_or_b32 exec_lo, exec_lo, s4
	v_mad_u64_u32 v[45:46], null, 0xa0, v70, s[2:3]
	s_waitcnt lgkmcnt(0)
	s_waitcnt_vscnt null, 0x0
	s_barrier
	buffer_gl0_inv
	ds_read_b128 v[192:195], v255
	ds_read_b128 v[0:3], v255 offset:2912
	ds_read_b128 v[8:11], v255 offset:5824
	;; [unrolled: 1-line block ×10, first 2 shown]
	s_mov_b32 s26, 0xf8bb580b
	s_mov_b32 s4, 0x43842ef
	v_add_co_u32 v4, s2, 0xb40, v45
	v_add_co_ci_u32_e64 v5, s2, 0, v46, s2
	v_add_co_u32 v47, s2, 0x800, v45
	v_add_co_ci_u32_e64 v48, s2, 0, v46, s2
	s_mov_b32 s18, 0xbb3a28a1
	s_mov_b32 s22, 0xfd768dbf
	s_clause 0x3
	global_load_dwordx4 v[164:167], v[47:48], off offset:832
	global_load_dwordx4 v[136:139], v[4:5], off offset:48
	global_load_dwordx4 v[140:143], v[4:5], off offset:32
	global_load_dwordx4 v[152:155], v[4:5], off offset:16
	s_mov_b32 s27, 0xbfe14ced
	s_mov_b32 s13, 0xbfed1bb4
	;; [unrolled: 1-line block ×20, first 2 shown]
	s_waitcnt vmcnt(3) lgkmcnt(9)
	v_mul_f64 v[4:5], v[2:3], v[166:167]
	v_fma_f64 v[49:50], v[0:1], v[164:165], -v[4:5]
	v_mul_f64 v[0:1], v[0:1], v[166:167]
	v_fma_f64 v[51:52], v[2:3], v[164:165], v[0:1]
	s_waitcnt vmcnt(1) lgkmcnt(7)
	v_mul_f64 v[2:3], v[12:13], v[142:143]
	s_waitcnt vmcnt(0)
	v_mul_f64 v[0:1], v[10:11], v[154:155]
	v_fma_f64 v[212:213], v[14:15], v[140:141], v[2:3]
	s_waitcnt lgkmcnt(6)
	v_mul_f64 v[2:3], v[18:19], v[138:139]
	v_fma_f64 v[6:7], v[8:9], v[152:153], -v[0:1]
	v_mul_f64 v[0:1], v[8:9], v[154:155]
	v_fma_f64 v[208:209], v[16:17], v[136:137], -v[2:3]
	v_mul_f64 v[2:3], v[16:17], v[138:139]
	v_fma_f64 v[4:5], v[10:11], v[152:153], v[0:1]
	v_mul_f64 v[0:1], v[14:15], v[142:143]
	v_add_f64 v[16:17], v[192:193], v[49:50]
	v_fma_f64 v[204:205], v[18:19], v[136:137], v[2:3]
	v_add_co_u32 v2, s2, 0xb80, v45
	v_add_co_ci_u32_e64 v3, s2, 0, v46, s2
	s_clause 0x3
	global_load_dwordx4 v[144:147], v[47:48], off offset:896
	global_load_dwordx4 v[160:163], v[2:3], off offset:48
	;; [unrolled: 1-line block ×4, first 2 shown]
	v_fma_f64 v[0:1], v[12:13], v[140:141], -v[0:1]
	v_add_f64 v[18:19], v[194:195], v[51:52]
	v_add_f64 v[16:17], v[16:17], v[6:7]
	;; [unrolled: 1-line block ×7, first 2 shown]
	s_waitcnt vmcnt(3) lgkmcnt(5)
	v_mul_f64 v[2:3], v[22:23], v[146:147]
	s_waitcnt vmcnt(2) lgkmcnt(2)
	v_mul_f64 v[8:9], v[33:34], v[162:163]
	v_fma_f64 v[200:201], v[20:21], v[144:145], -v[2:3]
	v_fma_f64 v[214:215], v[35:36], v[160:161], v[8:9]
	v_add_co_u32 v8, s2, 0xbc0, v45
	v_add_co_ci_u32_e64 v9, s2, 0, v46, s2
	s_clause 0x1
	global_load_dwordx4 v[172:175], v[47:48], off offset:960
	global_load_dwordx4 v[176:179], v[8:9], off offset:16
	v_mul_f64 v[2:3], v[20:21], v[146:147]
	s_mov_b32 s2, 0x640f44db
	s_mov_b32 s3, 0xbfc2375f
	v_add_f64 v[16:17], v[16:17], v[200:201]
	v_fma_f64 v[196:197], v[22:23], v[144:145], v[2:3]
	s_waitcnt vmcnt(2)
	v_mul_f64 v[2:3], v[27:28], v[150:151]
	v_add_f64 v[18:19], v[18:19], v[196:197]
	v_fma_f64 v[202:203], v[25:26], v[148:149], -v[2:3]
	v_mul_f64 v[2:3], v[25:26], v[150:151]
	v_add_f64 v[16:17], v[16:17], v[202:203]
	v_fma_f64 v[198:199], v[27:28], v[148:149], v[2:3]
	v_mul_f64 v[2:3], v[31:32], v[158:159]
	v_add_f64 v[18:19], v[18:19], v[198:199]
	v_fma_f64 v[210:211], v[29:30], v[156:157], -v[2:3]
	v_mul_f64 v[2:3], v[29:30], v[158:159]
	v_add_f64 v[16:17], v[16:17], v[210:211]
	v_fma_f64 v[206:207], v[31:32], v[156:157], v[2:3]
	v_mul_f64 v[2:3], v[35:36], v[162:163]
	v_add_f64 v[18:19], v[18:19], v[206:207]
	v_fma_f64 v[2:3], v[33:34], v[160:161], -v[2:3]
	v_add_f64 v[18:19], v[18:19], v[214:215]
	v_add_f64 v[16:17], v[16:17], v[2:3]
	s_waitcnt vmcnt(1) lgkmcnt(1)
	v_mul_f64 v[8:9], v[39:40], v[174:175]
	s_waitcnt vmcnt(0) lgkmcnt(0)
	v_mul_f64 v[12:13], v[43:44], v[178:179]
	v_mul_f64 v[14:15], v[41:42], v[178:179]
	v_fma_f64 v[10:11], v[37:38], v[172:173], -v[8:9]
	v_mul_f64 v[8:9], v[37:38], v[174:175]
	v_fma_f64 v[12:13], v[41:42], v[176:177], -v[12:13]
	v_fma_f64 v[14:15], v[43:44], v[176:177], v[14:15]
	v_add_f64 v[16:17], v[16:17], v[10:11]
	v_fma_f64 v[8:9], v[39:40], v[172:173], v[8:9]
	v_add_f64 v[188:189], v[16:17], v[12:13]
	v_add_f64 v[18:19], v[18:19], v[8:9]
	;; [unrolled: 1-line block ×3, first 2 shown]
	v_add_f64 v[12:13], v[49:50], -v[12:13]
	v_add_f64 v[190:191], v[18:19], v[14:15]
	v_add_f64 v[18:19], v[51:52], v[14:15]
	v_add_f64 v[14:15], v[51:52], -v[14:15]
	v_mul_f64 v[25:26], v[12:13], s[26:27]
	v_mul_f64 v[33:34], v[12:13], s[12:13]
	v_mul_f64 v[41:42], v[12:13], s[4:5]
	v_mul_f64 v[49:50], v[12:13], s[18:19]
	v_mul_f64 v[12:13], v[12:13], s[22:23]
	v_mul_f64 v[20:21], v[14:15], s[26:27]
	v_fma_f64 v[27:28], v[18:19], s[16:17], v[25:26]
	v_fma_f64 v[25:26], v[18:19], s[16:17], -v[25:26]
	v_mul_f64 v[29:30], v[14:15], s[12:13]
	v_fma_f64 v[35:36], v[18:19], s[14:15], v[33:34]
	v_fma_f64 v[33:34], v[18:19], s[14:15], -v[33:34]
	v_mul_f64 v[37:38], v[14:15], s[4:5]
	;; [unrolled: 3-line block ×4, first 2 shown]
	v_fma_f64 v[55:56], v[18:19], s[24:25], v[12:13]
	v_fma_f64 v[12:13], v[18:19], s[24:25], -v[12:13]
	v_add_f64 v[18:19], v[4:5], v[8:9]
	v_add_f64 v[4:5], v[4:5], -v[8:9]
	v_fma_f64 v[22:23], v[16:17], s[16:17], -v[20:21]
	v_fma_f64 v[20:21], v[16:17], s[16:17], v[20:21]
	v_add_f64 v[25:26], v[194:195], v[25:26]
	v_fma_f64 v[31:32], v[16:17], s[14:15], -v[29:30]
	v_fma_f64 v[29:30], v[16:17], s[14:15], v[29:30]
	v_add_f64 v[27:28], v[194:195], v[27:28]
	;; [unrolled: 3-line block ×5, first 2 shown]
	v_add_f64 v[6:7], v[6:7], -v[10:11]
	v_mul_f64 v[8:9], v[4:5], s[12:13]
	v_add_f64 v[41:42], v[194:195], v[41:42]
	v_add_f64 v[49:50], v[194:195], v[49:50]
	;; [unrolled: 1-line block ×16, first 2 shown]
	v_fma_f64 v[10:11], v[16:17], s[14:15], -v[8:9]
	v_fma_f64 v[8:9], v[16:17], s[14:15], v[8:9]
	v_add_f64 v[10:11], v[10:11], v[22:23]
	v_mul_f64 v[22:23], v[6:7], s[12:13]
	v_add_f64 v[8:9], v[8:9], v[20:21]
	s_mov_b32 s13, 0x3fed1bb4
	v_fma_f64 v[57:58], v[18:19], s[14:15], v[22:23]
	v_fma_f64 v[20:21], v[18:19], s[14:15], -v[22:23]
	v_mul_f64 v[22:23], v[4:5], s[18:19]
	v_add_f64 v[27:28], v[57:58], v[27:28]
	v_add_f64 v[20:21], v[20:21], v[25:26]
	v_fma_f64 v[25:26], v[16:17], s[20:21], -v[22:23]
	v_fma_f64 v[22:23], v[16:17], s[20:21], v[22:23]
	v_add_f64 v[25:26], v[25:26], v[31:32]
	v_mul_f64 v[31:32], v[6:7], s[18:19]
	v_add_f64 v[22:23], v[22:23], v[29:30]
	v_fma_f64 v[57:58], v[18:19], s[20:21], v[31:32]
	v_fma_f64 v[29:30], v[18:19], s[20:21], -v[31:32]
	v_mul_f64 v[31:32], v[4:5], s[34:35]
	v_add_f64 v[35:36], v[57:58], v[35:36]
	v_add_f64 v[29:30], v[29:30], v[33:34]
	v_fma_f64 v[33:34], v[16:17], s[24:25], -v[31:32]
	v_fma_f64 v[31:32], v[16:17], s[24:25], v[31:32]
	v_add_f64 v[33:34], v[33:34], v[39:40]
	v_mul_f64 v[39:40], v[6:7], s[34:35]
	v_add_f64 v[31:32], v[31:32], v[37:38]
	v_fma_f64 v[57:58], v[18:19], s[24:25], v[39:40]
	v_fma_f64 v[37:38], v[18:19], s[24:25], -v[39:40]
	v_mul_f64 v[39:40], v[4:5], s[30:31]
	v_mul_f64 v[4:5], v[4:5], s[28:29]
	v_add_f64 v[43:44], v[57:58], v[43:44]
	v_add_f64 v[37:38], v[37:38], v[41:42]
	v_fma_f64 v[41:42], v[16:17], s[2:3], -v[39:40]
	v_fma_f64 v[39:40], v[16:17], s[2:3], v[39:40]
	v_add_f64 v[41:42], v[41:42], v[47:48]
	v_mul_f64 v[47:48], v[6:7], s[30:31]
	v_add_f64 v[39:40], v[39:40], v[45:46]
	v_mul_f64 v[6:7], v[6:7], s[28:29]
	v_fma_f64 v[45:46], v[18:19], s[2:3], -v[47:48]
	v_fma_f64 v[57:58], v[18:19], s[2:3], v[47:48]
	v_fma_f64 v[47:48], v[16:17], s[16:17], -v[4:5]
	v_fma_f64 v[4:5], v[16:17], s[16:17], v[4:5]
	v_add_f64 v[45:46], v[45:46], v[49:50]
	v_fma_f64 v[49:50], v[18:19], s[16:17], v[6:7]
	v_fma_f64 v[6:7], v[18:19], s[16:17], -v[6:7]
	v_add_f64 v[4:5], v[4:5], v[14:15]
	v_add_f64 v[14:15], v[212:213], v[214:215]
	;; [unrolled: 1-line block ×7, first 2 shown]
	v_add_f64 v[0:1], v[0:1], -v[2:3]
	v_add_f64 v[2:3], v[212:213], -v[214:215]
	v_mul_f64 v[16:17], v[2:3], s[4:5]
	v_fma_f64 v[18:19], v[12:13], s[2:3], -v[16:17]
	v_fma_f64 v[16:17], v[12:13], s[2:3], v[16:17]
	v_add_f64 v[10:11], v[18:19], v[10:11]
	v_mul_f64 v[18:19], v[0:1], s[4:5]
	v_add_f64 v[8:9], v[16:17], v[8:9]
	v_fma_f64 v[53:54], v[14:15], s[2:3], v[18:19]
	v_fma_f64 v[16:17], v[14:15], s[2:3], -v[18:19]
	v_mul_f64 v[18:19], v[2:3], s[34:35]
	v_add_f64 v[27:28], v[53:54], v[27:28]
	v_add_f64 v[16:17], v[16:17], v[20:21]
	v_fma_f64 v[20:21], v[12:13], s[24:25], -v[18:19]
	v_fma_f64 v[18:19], v[12:13], s[24:25], v[18:19]
	v_add_f64 v[20:21], v[20:21], v[25:26]
	v_mul_f64 v[25:26], v[0:1], s[34:35]
	v_add_f64 v[18:19], v[18:19], v[22:23]
	v_fma_f64 v[53:54], v[14:15], s[24:25], v[25:26]
	v_fma_f64 v[22:23], v[14:15], s[24:25], -v[25:26]
	v_mul_f64 v[25:26], v[2:3], s[12:13]
	v_add_f64 v[35:36], v[53:54], v[35:36]
	v_add_f64 v[22:23], v[22:23], v[29:30]
	v_fma_f64 v[29:30], v[12:13], s[14:15], -v[25:26]
	v_fma_f64 v[25:26], v[12:13], s[14:15], v[25:26]
	v_add_f64 v[29:30], v[29:30], v[33:34]
	v_mul_f64 v[33:34], v[0:1], s[12:13]
	v_add_f64 v[25:26], v[25:26], v[31:32]
	v_fma_f64 v[53:54], v[14:15], s[14:15], v[33:34]
	v_fma_f64 v[31:32], v[14:15], s[14:15], -v[33:34]
	v_mul_f64 v[33:34], v[2:3], s[26:27]
	v_mul_f64 v[2:3], v[2:3], s[18:19]
	v_add_f64 v[43:44], v[53:54], v[43:44]
	v_add_f64 v[31:32], v[31:32], v[37:38]
	v_fma_f64 v[37:38], v[12:13], s[16:17], -v[33:34]
	v_fma_f64 v[33:34], v[12:13], s[16:17], v[33:34]
	v_add_f64 v[37:38], v[37:38], v[41:42]
	v_mul_f64 v[41:42], v[0:1], s[26:27]
	v_add_f64 v[33:34], v[33:34], v[39:40]
	v_mul_f64 v[0:1], v[0:1], s[18:19]
	v_fma_f64 v[39:40], v[14:15], s[16:17], -v[41:42]
	v_fma_f64 v[53:54], v[14:15], s[16:17], v[41:42]
	v_fma_f64 v[41:42], v[12:13], s[20:21], -v[2:3]
	v_fma_f64 v[2:3], v[12:13], s[20:21], v[2:3]
	v_add_f64 v[12:13], v[208:209], -v[210:211]
	v_add_f64 v[39:40], v[39:40], v[45:46]
	v_fma_f64 v[45:46], v[14:15], s[20:21], v[0:1]
	v_fma_f64 v[0:1], v[14:15], s[20:21], -v[0:1]
	v_add_f64 v[14:15], v[204:205], -v[206:207]
	v_add_f64 v[41:42], v[41:42], v[47:48]
	v_add_f64 v[2:3], v[2:3], v[4:5]
	;; [unrolled: 1-line block ×6, first 2 shown]
	v_mul_f64 v[47:48], v[14:15], s[18:19]
	v_add_f64 v[6:7], v[204:205], v[206:207]
	v_fma_f64 v[49:50], v[4:5], s[20:21], -v[47:48]
	v_fma_f64 v[47:48], v[4:5], s[20:21], v[47:48]
	v_add_f64 v[49:50], v[49:50], v[10:11]
	v_mul_f64 v[10:11], v[12:13], s[18:19]
	v_add_f64 v[47:48], v[47:48], v[8:9]
	v_fma_f64 v[8:9], v[6:7], s[20:21], -v[10:11]
	v_fma_f64 v[53:54], v[6:7], s[20:21], v[10:11]
	v_add_f64 v[16:17], v[8:9], v[16:17]
	;; [unrolled: 5-line block ×5, first 2 shown]
	v_mul_f64 v[10:11], v[12:13], s[26:27]
	v_fma_f64 v[53:54], v[6:7], s[16:17], v[10:11]
	v_add_f64 v[43:44], v[53:54], v[43:44]
	v_add_f64 v[53:54], v[8:9], v[25:26]
	v_fma_f64 v[8:9], v[6:7], s[16:17], -v[10:11]
	v_add_f64 v[31:32], v[8:9], v[31:32]
	v_mul_f64 v[8:9], v[14:15], s[22:23]
	v_mul_f64 v[14:15], v[14:15], s[12:13]
	v_fma_f64 v[10:11], v[4:5], s[24:25], -v[8:9]
	v_fma_f64 v[8:9], v[4:5], s[24:25], v[8:9]
	v_add_f64 v[37:38], v[10:11], v[37:38]
	v_mul_f64 v[10:11], v[12:13], s[22:23]
	v_add_f64 v[55:56], v[8:9], v[33:34]
	v_mul_f64 v[12:13], v[12:13], s[12:13]
	v_fma_f64 v[8:9], v[6:7], s[24:25], -v[10:11]
	v_fma_f64 v[25:26], v[6:7], s[24:25], v[10:11]
	v_fma_f64 v[10:11], v[6:7], s[14:15], v[12:13]
	v_add_f64 v[39:40], v[8:9], v[39:40]
	v_fma_f64 v[8:9], v[4:5], s[14:15], -v[14:15]
	v_fma_f64 v[4:5], v[4:5], s[14:15], v[14:15]
	v_add_f64 v[51:52], v[25:26], v[51:52]
	v_add_f64 v[10:11], v[10:11], v[45:46]
	;; [unrolled: 1-line block ×3, first 2 shown]
	v_add_f64 v[41:42], v[196:197], -v[198:199]
	v_add_f64 v[4:5], v[4:5], v[2:3]
	v_fma_f64 v[2:3], v[6:7], s[14:15], -v[12:13]
	v_add_f64 v[6:7], v[200:201], v[202:203]
	v_add_f64 v[12:13], v[200:201], -v[202:203]
	v_mul_f64 v[14:15], v[41:42], s[22:23]
	v_add_f64 v[0:1], v[2:3], v[0:1]
	v_add_f64 v[2:3], v[196:197], v[198:199]
	v_fma_f64 v[25:26], v[6:7], s[24:25], -v[14:15]
	v_fma_f64 v[14:15], v[6:7], s[24:25], v[14:15]
	v_add_f64 v[196:197], v[25:26], v[49:50]
	v_mul_f64 v[25:26], v[12:13], s[22:23]
	v_add_f64 v[192:193], v[14:15], v[47:48]
	v_fma_f64 v[33:34], v[2:3], s[24:25], v[25:26]
	v_fma_f64 v[14:15], v[2:3], s[24:25], -v[25:26]
	v_mul_f64 v[25:26], v[41:42], s[28:29]
	v_add_f64 v[198:199], v[33:34], v[27:28]
	v_add_f64 v[194:195], v[14:15], v[16:17]
	v_fma_f64 v[14:15], v[6:7], s[16:17], -v[25:26]
	v_fma_f64 v[25:26], v[6:7], s[16:17], v[25:26]
	v_mul_f64 v[33:34], v[12:13], s[18:19]
	v_add_f64 v[14:15], v[14:15], v[20:21]
	v_mul_f64 v[20:21], v[12:13], s[28:29]
	v_add_f64 v[18:19], v[25:26], v[18:19]
	v_fma_f64 v[27:28], v[2:3], s[20:21], v[33:34]
	v_fma_f64 v[16:17], v[2:3], s[16:17], v[20:21]
	v_fma_f64 v[20:21], v[2:3], s[16:17], -v[20:21]
	v_add_f64 v[27:28], v[27:28], v[43:44]
	v_mul_f64 v[43:44], v[12:13], s[12:13]
	v_mul_f64 v[12:13], v[12:13], s[4:5]
	v_add_f64 v[16:17], v[16:17], v[35:36]
	v_add_f64 v[20:21], v[20:21], v[22:23]
	v_mul_f64 v[22:23], v[41:42], s[18:19]
	v_fma_f64 v[35:36], v[2:3], s[14:15], v[43:44]
	v_fma_f64 v[25:26], v[6:7], s[20:21], -v[22:23]
	v_fma_f64 v[22:23], v[6:7], s[20:21], v[22:23]
	v_add_f64 v[35:36], v[35:36], v[51:52]
	v_add_f64 v[25:26], v[25:26], v[29:30]
	;; [unrolled: 1-line block ×3, first 2 shown]
	v_fma_f64 v[22:23], v[2:3], s[20:21], -v[33:34]
	v_add_f64 v[31:32], v[22:23], v[31:32]
	v_mul_f64 v[22:23], v[41:42], s[12:13]
	v_fma_f64 v[33:34], v[6:7], s[14:15], -v[22:23]
	v_fma_f64 v[22:23], v[6:7], s[14:15], v[22:23]
	v_add_f64 v[33:34], v[33:34], v[37:38]
	v_add_f64 v[37:38], v[22:23], v[55:56]
	v_fma_f64 v[22:23], v[2:3], s[14:15], -v[43:44]
	v_add_f64 v[39:40], v[22:23], v[39:40]
	v_mul_f64 v[22:23], v[41:42], s[4:5]
	v_fma_f64 v[41:42], v[6:7], s[2:3], -v[22:23]
	v_fma_f64 v[6:7], v[6:7], s[2:3], v[22:23]
	v_add_f64 v[8:9], v[41:42], v[8:9]
	v_fma_f64 v[41:42], v[2:3], s[2:3], v[12:13]
	v_fma_f64 v[2:3], v[2:3], s[2:3], -v[12:13]
	v_add_f64 v[4:5], v[6:7], v[4:5]
	v_add_f64 v[10:11], v[41:42], v[10:11]
	;; [unrolled: 1-line block ×3, first 2 shown]
	ds_write_b128 v255, v[188:191]
	ds_write_b128 v255, v[196:199] offset:2912
	ds_write_b128 v255, v[14:17] offset:5824
	;; [unrolled: 1-line block ×10, first 2 shown]
	v_add_co_u32 v4, s2, 0x7800, v242
	v_add_co_ci_u32_e64 v5, s2, 0, v24, s2
	s_waitcnt lgkmcnt(0)
	s_barrier
	buffer_gl0_inv
	global_load_dwordx4 v[4:7], v[4:5], off offset:1312
	ds_read_b128 v[0:3], v255
	s_waitcnt vmcnt(0) lgkmcnt(0)
	v_mul_f64 v[8:9], v[2:3], v[6:7]
	v_fma_f64 v[8:9], v[0:1], v[4:5], -v[8:9]
	v_mul_f64 v[0:1], v[0:1], v[6:7]
	v_fma_f64 v[10:11], v[2:3], v[4:5], v[0:1]
	v_add_co_u32 v4, s2, 0xb800, v242
	v_add_co_ci_u32_e64 v5, s2, 0, v24, s2
	ds_read_b128 v[0:3], v255 offset:16016
	global_load_dwordx4 v[4:7], v[4:5], off offset:944
	ds_write_b128 v255, v[8:11]
	s_waitcnt vmcnt(0) lgkmcnt(1)
	v_mul_f64 v[8:9], v[2:3], v[6:7]
	v_fma_f64 v[8:9], v[0:1], v[4:5], -v[8:9]
	v_mul_f64 v[0:1], v[0:1], v[6:7]
	v_fma_f64 v[10:11], v[2:3], v[4:5], v[0:1]
	v_add_co_u32 v4, s2, 0x8800, v242
	v_add_co_ci_u32_e64 v5, s2, 0, v24, s2
	ds_read_b128 v[0:3], v255 offset:2912
	global_load_dwordx4 v[4:7], v[4:5], off offset:128
	ds_write_b128 v255, v[8:11] offset:16016
	s_waitcnt vmcnt(0) lgkmcnt(1)
	v_mul_f64 v[8:9], v[2:3], v[6:7]
	v_fma_f64 v[8:9], v[0:1], v[4:5], -v[8:9]
	v_mul_f64 v[0:1], v[0:1], v[6:7]
	v_fma_f64 v[10:11], v[2:3], v[4:5], v[0:1]
	v_add_co_u32 v4, s2, 0xc000, v242
	v_add_co_ci_u32_e64 v5, s2, 0, v24, s2
	ds_read_b128 v[0:3], v255 offset:18928
	global_load_dwordx4 v[4:7], v[4:5], off offset:1808
	ds_write_b128 v255, v[8:11] offset:2912
	;; [unrolled: 10-line block ×8, first 2 shown]
	s_waitcnt vmcnt(0) lgkmcnt(1)
	v_mul_f64 v[8:9], v[2:3], v[6:7]
	v_fma_f64 v[8:9], v[0:1], v[4:5], -v[8:9]
	v_mul_f64 v[0:1], v[0:1], v[6:7]
	v_fma_f64 v[10:11], v[2:3], v[4:5], v[0:1]
	ds_write_b128 v255, v[8:11] offset:27664
	s_and_saveexec_b32 s3, vcc_lo
	s_cbranch_execz .LBB0_17
; %bb.16:
	v_add_co_u32 v2, s2, 0x7d20, v242
	v_add_co_ci_u32_e64 v3, s2, 0, v24, s2
	v_add_co_u32 v0, s2, 0x3800, v2
	v_add_co_ci_u32_e64 v1, s2, 0, v3, s2
	;; [unrolled: 2-line block ×3, first 2 shown]
	s_clause 0x1
	global_load_dwordx4 v[0:3], v[0:1], off offset:224
	global_load_dwordx4 v[4:7], v[4:5], off offset:1904
	ds_read_b128 v[8:11], v255 offset:14560
	ds_read_b128 v[12:15], v255 offset:30576
	s_waitcnt vmcnt(1) lgkmcnt(1)
	v_mul_f64 v[16:17], v[10:11], v[2:3]
	v_mul_f64 v[2:3], v[8:9], v[2:3]
	s_waitcnt vmcnt(0) lgkmcnt(0)
	v_mul_f64 v[18:19], v[14:15], v[6:7]
	v_mul_f64 v[20:21], v[12:13], v[6:7]
	v_fma_f64 v[6:7], v[8:9], v[0:1], -v[16:17]
	v_fma_f64 v[8:9], v[10:11], v[0:1], v[2:3]
	v_fma_f64 v[0:1], v[12:13], v[4:5], -v[18:19]
	v_fma_f64 v[2:3], v[14:15], v[4:5], v[20:21]
	ds_write_b128 v255, v[6:9] offset:14560
	ds_write_b128 v255, v[0:3] offset:30576
.LBB0_17:
	s_or_b32 exec_lo, exec_lo, s3
	s_waitcnt lgkmcnt(0)
	s_barrier
	buffer_gl0_inv
	ds_read_b128 v[196:199], v255
	ds_read_b128 v[204:207], v255 offset:2912
	ds_read_b128 v[216:219], v255 offset:18928
	;; [unrolled: 1-line block ×9, first 2 shown]
	buffer_load_dword v0, off, s[48:51], 0 offset:516 ; 4-byte Folded Reload
	s_waitcnt vmcnt(0)
	v_add_nc_u32_e32 v1, 0x2d80, v0
	v_add_nc_u32_e32 v2, 0x4440, v0
	;; [unrolled: 1-line block ×3, first 2 shown]
	s_and_saveexec_b32 s2, vcc_lo
	s_cbranch_execz .LBB0_19
; %bb.18:
	ds_read_b128 v[192:195], v255 offset:14560
	ds_read_b128 v[184:187], v255 offset:30576
.LBB0_19:
	s_or_b32 exec_lo, exec_lo, s2
	s_waitcnt lgkmcnt(0)
	s_barrier
	buffer_gl0_inv
	s_clause 0x1
	buffer_load_dword v3, off, s[48:51], 0 offset:492
	buffer_load_dword v4, off, s[48:51], 0 offset:500
	v_add_f64 v[220:221], v[196:197], -v[220:221]
	v_add_f64 v[222:223], v[198:199], -v[222:223]
	;; [unrolled: 1-line block ×12, first 2 shown]
	v_fma_f64 v[184:185], v[196:197], 2.0, -v[220:221]
	v_fma_f64 v[186:187], v[198:199], 2.0, -v[222:223]
	;; [unrolled: 1-line block ×12, first 2 shown]
	s_waitcnt vmcnt(1)
	ds_write_b128 v3, v[220:223] offset:16
	s_waitcnt vmcnt(0)
	ds_write_b128 v4, v[216:219] offset:16
	ds_write_b128 v1, v[200:203] offset:16
	;; [unrolled: 1-line block ×3, first 2 shown]
	ds_write_b128 v3, v[184:187]
	ds_write_b128 v4, v[224:227]
	;; [unrolled: 1-line block ×5, first 2 shown]
	ds_write_b128 v0, v[212:215] offset:16
	s_and_saveexec_b32 s2, vcc_lo
	s_cbranch_execz .LBB0_21
; %bb.20:
	buffer_load_dword v0, off, s[48:51], 0 offset:508 ; 4-byte Folded Reload
	s_waitcnt vmcnt(0)
	ds_write_b128 v0, v[192:195]
	ds_write_b128 v0, v[228:231] offset:16
.LBB0_21:
	s_or_b32 exec_lo, exec_lo, s2
	s_waitcnt lgkmcnt(0)
	s_barrier
	buffer_gl0_inv
	s_and_saveexec_b32 s2, s0
	s_cbranch_execz .LBB0_23
; %bb.22:
	ds_read_b128 v[184:187], v255
	ds_read_b128 v[220:223], v255 offset:2464
	ds_read_b128 v[224:227], v255 offset:4928
	;; [unrolled: 1-line block ×12, first 2 shown]
.LBB0_23:
	s_or_b32 exec_lo, exec_lo, s2
	s_clause 0xb
	buffer_load_dword v16, off, s[48:51], 0 offset:428
	buffer_load_dword v17, off, s[48:51], 0 offset:432
	;; [unrolled: 1-line block ×12, first 2 shown]
	s_mov_b32 s4, 0x4267c47c
	s_mov_b32 s2, 0xe00740e9
	;; [unrolled: 1-line block ×35, first 2 shown]
	s_waitcnt vmcnt(8) lgkmcnt(11)
	v_mul_f64 v[0:1], v[18:19], v[220:221]
	v_mul_f64 v[4:5], v[18:19], v[222:223]
	s_clause 0x3
	buffer_load_dword v18, off, s[48:51], 0 offset:444
	buffer_load_dword v19, off, s[48:51], 0 offset:448
	;; [unrolled: 1-line block ×4, first 2 shown]
	s_waitcnt vmcnt(8) lgkmcnt(0)
	v_mul_f64 v[2:3], v[27:28], v[180:181]
	s_waitcnt vmcnt(4)
	v_mul_f64 v[6:7], v[31:32], v[224:225]
	v_mul_f64 v[8:9], v[27:28], v[182:183]
	s_clause 0x7
	buffer_load_dword v41, off, s[48:51], 0 offset:412
	buffer_load_dword v42, off, s[48:51], 0 offset:416
	;; [unrolled: 1-line block ×8, first 2 shown]
	v_fma_f64 v[33:34], v[16:17], v[222:223], -v[0:1]
	v_mul_f64 v[0:1], v[31:32], v[226:227]
	v_fma_f64 v[49:50], v[16:17], v[220:221], v[4:5]
	v_fma_f64 v[22:23], v[25:26], v[182:183], -v[2:3]
	v_fma_f64 v[47:48], v[29:30], v[226:227], -v[6:7]
	v_fma_f64 v[45:46], v[25:26], v[180:181], v[8:9]
	s_clause 0x3
	buffer_load_dword v25, off, s[48:51], 0 offset:364
	buffer_load_dword v26, off, s[48:51], 0 offset:368
	;; [unrolled: 1-line block ×4, first 2 shown]
	v_fma_f64 v[53:54], v[29:30], v[224:225], v[0:1]
	v_add_f64 v[226:227], v[33:34], -v[22:23]
	buffer_store_dword v22, off, s[48:51], 0 offset:428 ; 4-byte Folded Spill
	buffer_store_dword v23, off, s[48:51], 0 offset:432 ; 4-byte Folded Spill
	buffer_store_dword v33, off, s[48:51], 0 offset:444 ; 4-byte Folded Spill
	buffer_store_dword v34, off, s[48:51], 0 offset:448 ; 4-byte Folded Spill
	v_add_f64 v[124:125], v[49:50], v[45:46]
	v_mul_f64 v[55:56], v[226:227], s[4:5]
	v_mul_f64 v[170:171], v[226:227], s[12:13]
	;; [unrolled: 1-line block ×5, first 2 shown]
	s_waitcnt vmcnt(12)
	v_mul_f64 v[10:11], v[20:21], v[228:229]
	v_mul_f64 v[14:15], v[20:21], v[230:231]
	s_waitcnt vmcnt(8)
	v_mul_f64 v[2:3], v[43:44], v[216:217]
	s_waitcnt vmcnt(4)
	v_mul_f64 v[12:13], v[39:40], v[192:193]
	v_mul_f64 v[8:9], v[39:40], v[194:195]
	;; [unrolled: 1-line block ×3, first 2 shown]
	v_fma_f64 v[10:11], v[18:19], v[230:231], -v[10:11]
	v_fma_f64 v[39:40], v[18:19], v[228:229], v[14:15]
	s_waitcnt vmcnt(0)
	v_mul_f64 v[6:7], v[27:28], v[208:209]
	v_fma_f64 v[51:52], v[41:42], v[218:219], -v[2:3]
	v_fma_f64 v[43:44], v[37:38], v[194:195], -v[12:13]
	v_mul_f64 v[2:3], v[27:28], v[210:211]
	v_fma_f64 v[180:181], v[41:42], v[216:217], v[4:5]
	v_add_f64 v[238:239], v[47:48], -v[10:11]
	v_add_f64 v[228:229], v[33:34], v[22:23]
	s_clause 0xb
	buffer_load_dword v33, off, s[48:51], 0 offset:380
	buffer_load_dword v34, off, s[48:51], 0 offset:384
	;; [unrolled: 1-line block ×12, first 2 shown]
	buffer_store_dword v45, off, s[48:51], 0 offset:396 ; 4-byte Folded Spill
	buffer_store_dword v46, off, s[48:51], 0 offset:400 ; 4-byte Folded Spill
	;; [unrolled: 1-line block ×8, first 2 shown]
	v_add_f64 v[116:117], v[53:54], v[39:40]
	buffer_store_dword v55, off, s[48:51], 0 offset:508 ; 4-byte Folded Spill
	buffer_store_dword v56, off, s[48:51], 0 offset:512 ; 4-byte Folded Spill
	;; [unrolled: 1-line block ×6, first 2 shown]
	v_fma_f64 v[22:23], v[37:38], v[192:193], v[8:9]
	v_fma_f64 v[194:195], v[25:26], v[210:211], -v[6:7]
	v_mul_f64 v[8:9], v[238:239], s[12:13]
	v_mul_f64 v[27:28], v[228:229], s[2:3]
	v_mul_f64 v[64:65], v[228:229], s[14:15]
	v_mul_f64 v[130:131], v[228:229], s[20:21]
	v_mul_f64 v[118:119], v[238:239], s[38:39]
	v_mul_f64 v[74:75], v[228:229], s[24:25]
	v_mul_f64 v[132:133], v[238:239], s[36:37]
	v_mul_f64 v[90:91], v[228:229], s[26:27]
	s_waitcnt vmcnt(8)
	v_mul_f64 v[0:1], v[35:36], v[212:213]
	s_waitcnt vmcnt(4)
	v_mul_f64 v[12:13], v[20:21], v[200:201]
	;; [unrolled: 2-line block ×3, first 2 shown]
	v_add_f64 v[106:107], v[47:48], v[10:11]
	v_add_f64 v[10:11], v[51:52], -v[43:44]
	buffer_store_dword v43, off, s[48:51], 0 offset:380 ; 4-byte Folded Spill
	buffer_store_dword v44, off, s[48:51], 0 offset:384 ; 4-byte Folded Spill
	;; [unrolled: 1-line block ×6, first 2 shown]
	v_add_f64 v[216:217], v[49:50], -v[45:46]
	v_mul_f64 v[6:7], v[31:32], v[206:207]
	buffer_store_dword v8, off, s[48:51], 0 offset:516 ; 4-byte Folded Spill
	buffer_store_dword v9, off, s[48:51], 0 offset:520 ; 4-byte Folded Spill
	v_mul_f64 v[16:17], v[35:36], v[214:215]
	v_fma_f64 v[4:5], v[124:125], s[2:3], -v[55:56]
	v_add_f64 v[224:225], v[53:54], -v[39:40]
	v_mul_f64 v[54:55], v[238:239], s[28:29]
	v_fma_f64 v[210:211], v[33:34], v[214:215], -v[0:1]
	v_mul_f64 v[0:1], v[20:21], v[202:203]
	v_fma_f64 v[214:215], v[25:26], v[208:209], v[2:3]
	v_mul_f64 v[31:32], v[106:107], s[14:15]
	v_mul_f64 v[20:21], v[10:11], s[16:17]
	v_fma_f64 v[220:221], v[18:19], v[202:203], -v[12:13]
	v_fma_f64 v[202:203], v[29:30], v[206:207], -v[14:15]
	v_add_f64 v[206:207], v[180:181], v[22:23]
	v_mul_f64 v[36:37], v[106:107], s[24:25]
	v_mul_f64 v[168:169], v[106:107], s[30:31]
	v_fma_f64 v[192:193], v[33:34], v[212:213], v[16:17]
	v_add_f64 v[4:5], v[184:185], v[4:5]
	v_mul_f64 v[212:213], v[106:107], s[26:27]
	v_mul_f64 v[114:115], v[10:11], s[34:35]
	v_add_f64 v[104:105], v[194:195], -v[210:211]
	v_fma_f64 v[232:233], v[18:19], v[200:201], v[0:1]
	v_fma_f64 v[200:201], v[29:30], v[204:205], v[6:7]
	v_add_f64 v[48:49], v[194:195], v[210:211]
	v_add_f64 v[182:183], v[220:221], -v[202:203]
	v_add_f64 v[128:129], v[220:221], v[202:203]
	v_fma_f64 v[38:39], v[224:225], s[28:29], v[168:169]
	v_add_f64 v[204:205], v[214:215], v[192:193]
	v_add_f64 v[245:246], v[214:215], -v[192:193]
	v_fma_f64 v[60:61], v[224:225], s[38:39], v[212:213]
	v_mul_f64 v[218:219], v[104:105], s[34:35]
	v_mul_f64 v[62:63], v[104:105], s[16:17]
	;; [unrolled: 1-line block ×9, first 2 shown]
	v_add_f64 v[14:15], v[51:52], v[43:44]
	v_fma_f64 v[2:3], v[216:217], s[4:5], v[27:28]
	s_clause 0x3
	buffer_load_dword v25, off, s[48:51], 0 offset:220
	buffer_load_dword v26, off, s[48:51], 0 offset:224
	;; [unrolled: 1-line block ×4, first 2 shown]
	buffer_store_dword v22, off, s[48:51], 0 offset:268 ; 4-byte Folded Spill
	buffer_store_dword v23, off, s[48:51], 0 offset:272 ; 4-byte Folded Spill
	;; [unrolled: 1-line block ×6, first 2 shown]
	v_fma_f64 v[8:9], v[116:117], s[14:15], -v[8:9]
	v_mul_f64 v[50:51], v[10:11], s[42:43]
	v_mul_f64 v[253:254], v[14:15], s[20:21]
	v_add_f64 v[2:3], v[186:187], v[2:3]
	v_mul_f64 v[52:53], v[14:15], s[24:25]
	v_mul_f64 v[96:97], v[14:15], s[2:3]
	v_add_f64 v[4:5], v[8:9], v[4:5]
	v_add_f64 v[234:235], v[180:181], -v[22:23]
	s_waitcnt vmcnt(0)
	v_mul_f64 v[12:13], v[27:28], v[198:199]
	v_fma_f64 v[6:7], v[206:207], s[20:21], -v[20:21]
	s_clause 0x3
	buffer_load_dword v20, off, s[48:51], 0 offset:204
	buffer_load_dword v21, off, s[48:51], 0 offset:208
	buffer_load_dword v22, off, s[48:51], 0 offset:212
	buffer_load_dword v23, off, s[48:51], 0 offset:216
	v_mul_f64 v[16:17], v[27:28], v[196:197]
	v_mul_f64 v[27:28], v[104:105], s[18:19]
	v_fma_f64 v[0:1], v[224:225], s[12:13], v[31:32]
	v_mul_f64 v[32:33], v[238:239], s[18:19]
	v_mul_f64 v[30:31], v[14:15], s[30:31]
	;; [unrolled: 1-line block ×3, first 2 shown]
	buffer_store_dword v27, off, s[48:51], 0 offset:220 ; 4-byte Folded Spill
	buffer_store_dword v28, off, s[48:51], 0 offset:224 ; 4-byte Folded Spill
	v_fma_f64 v[236:237], v[25:26], v[196:197], v[12:13]
	v_mul_f64 v[12:13], v[182:183], s[22:23]
	v_fma_f64 v[251:252], v[25:26], v[198:199], -v[16:17]
	v_add_f64 v[0:1], v[0:1], v[2:3]
	buffer_store_dword v12, off, s[48:51], 0 offset:204 ; 4-byte Folded Spill
	buffer_store_dword v13, off, s[48:51], 0 offset:208 ; 4-byte Folded Spill
	v_fma_f64 v[2:3], v[234:235], s[16:17], v[253:254]
	v_add_f64 v[196:197], v[232:233], v[200:201]
	v_add_f64 v[4:5], v[6:7], v[4:5]
	v_fma_f64 v[16:17], v[224:225], s[18:19], v[36:37]
	v_mul_f64 v[198:199], v[10:11], s[12:13]
	s_waitcnt vmcnt(0)
	s_waitcnt_vscnt null, 0x0
	s_barrier
	buffer_gl0_inv
	v_add_f64 v[2:3], v[2:3], v[0:1]
	v_mul_f64 v[8:9], v[22:23], v[188:189]
	v_mul_f64 v[18:19], v[22:23], v[190:191]
	;; [unrolled: 1-line block ×4, first 2 shown]
	v_fma_f64 v[240:241], v[20:21], v[190:191], -v[8:9]
	v_fma_f64 v[6:7], v[204:205], s[24:25], -v[27:28]
	v_fma_f64 v[249:250], v[20:21], v[188:189], v[18:19]
	v_add_f64 v[190:191], v[232:233], -v[200:201]
	v_mul_f64 v[188:189], v[128:129], s[26:27]
	v_fma_f64 v[8:9], v[245:246], s[18:19], v[247:248]
	v_mul_f64 v[28:29], v[10:11], s[28:29]
	v_mul_f64 v[20:21], v[104:105], s[38:39]
	v_add_f64 v[82:83], v[251:252], -v[240:241]
	v_add_f64 v[4:5], v[6:7], v[4:5]
	v_add_f64 v[0:1], v[236:237], v[249:250]
	v_fma_f64 v[12:13], v[196:197], s[26:27], -v[12:13]
	v_add_f64 v[102:103], v[251:252], v[240:241]
	v_add_f64 v[6:7], v[8:9], v[2:3]
	v_fma_f64 v[8:9], v[190:191], s[22:23], v[188:189]
	v_mul_f64 v[2:3], v[82:83], s[28:29]
	v_mul_f64 v[100:101], v[82:83], s[22:23]
	;; [unrolled: 1-line block ×3, first 2 shown]
	v_add_f64 v[4:5], v[12:13], v[4:5]
	v_mul_f64 v[126:127], v[102:103], s[14:15]
	v_mul_f64 v[98:99], v[102:103], s[24:25]
	v_add_f64 v[8:9], v[8:9], v[6:7]
	v_fma_f64 v[6:7], v[0:1], s[30:31], -v[2:3]
	v_add_f64 v[40:41], v[6:7], v[4:5]
	v_add_f64 v[6:7], v[236:237], -v[249:250]
	v_mul_f64 v[4:5], v[102:103], s[30:31]
	v_fma_f64 v[12:13], v[6:7], s[28:29], v[4:5]
	v_add_f64 v[42:43], v[12:13], v[8:9]
	v_fma_f64 v[8:9], v[124:125], s[14:15], -v[170:171]
	v_fma_f64 v[12:13], v[116:117], s[24:25], -v[32:33]
	v_add_f64 v[8:9], v[184:185], v[8:9]
	v_add_f64 v[8:9], v[12:13], v[8:9]
	v_fma_f64 v[12:13], v[216:217], s[12:13], v[64:65]
	v_add_f64 v[12:13], v[186:187], v[12:13]
	v_add_f64 v[12:13], v[16:17], v[12:13]
	v_fma_f64 v[16:17], v[206:207], s[30:31], -v[28:29]
	v_add_f64 v[8:9], v[16:17], v[8:9]
	v_fma_f64 v[16:17], v[234:235], s[28:29], v[30:31]
	v_add_f64 v[12:13], v[16:17], v[12:13]
	v_fma_f64 v[16:17], v[204:205], s[26:27], -v[20:21]
	v_add_f64 v[8:9], v[16:17], v[8:9]
	v_fma_f64 v[16:17], v[245:246], s[38:39], v[22:23]
	v_add_f64 v[12:13], v[16:17], v[12:13]
	v_mul_f64 v[16:17], v[182:183], s[36:37]
	v_fma_f64 v[18:19], v[196:197], s[20:21], -v[16:17]
	v_add_f64 v[25:26], v[18:19], v[8:9]
	v_mul_f64 v[18:19], v[128:129], s[20:21]
	v_fma_f64 v[8:9], v[190:191], s[36:37], v[18:19]
	v_add_f64 v[34:35], v[8:9], v[12:13]
	v_mul_f64 v[8:9], v[82:83], s[34:35]
	v_fma_f64 v[12:13], v[0:1], s[2:3], -v[8:9]
	v_add_f64 v[44:45], v[12:13], v[25:26]
	v_mul_f64 v[12:13], v[102:103], s[2:3]
	v_fma_f64 v[25:26], v[6:7], s[34:35], v[12:13]
	v_add_f64 v[46:47], v[25:26], v[34:35]
	v_fma_f64 v[25:26], v[124:125], s[20:21], -v[112:113]
	v_fma_f64 v[34:35], v[116:117], s[30:31], -v[54:55]
	v_add_f64 v[25:26], v[184:185], v[25:26]
	v_add_f64 v[25:26], v[34:35], v[25:26]
	v_fma_f64 v[34:35], v[216:217], s[16:17], v[130:131]
	v_add_f64 v[34:35], v[186:187], v[34:35]
	v_add_f64 v[34:35], v[38:39], v[34:35]
	v_fma_f64 v[38:39], v[206:207], s[24:25], -v[50:51]
	v_add_f64 v[25:26], v[38:39], v[25:26]
	v_fma_f64 v[38:39], v[234:235], s[42:43], v[52:53]
	v_add_f64 v[34:35], v[38:39], v[34:35]
	v_fma_f64 v[38:39], v[204:205], s[2:3], -v[218:219]
	v_add_f64 v[25:26], v[38:39], v[25:26]
	v_fma_f64 v[38:39], v[245:246], s[34:35], v[120:121]
	v_add_f64 v[56:57], v[38:39], v[34:35]
	v_mul_f64 v[34:35], v[182:183], s[12:13]
	v_fma_f64 v[38:39], v[196:197], s[14:15], -v[34:35]
	v_add_f64 v[25:26], v[38:39], v[25:26]
	v_mul_f64 v[38:39], v[128:129], s[14:15]
	v_fma_f64 v[58:59], v[190:191], s[12:13], v[38:39]
	v_add_f64 v[56:57], v[58:59], v[56:57]
	v_fma_f64 v[58:59], v[0:1], s[26:27], -v[100:101]
	v_add_f64 v[76:77], v[58:59], v[25:26]
	v_mul_f64 v[26:27], v[102:103], s[26:27]
	v_fma_f64 v[58:59], v[6:7], s[22:23], v[26:27]
	v_add_f64 v[78:79], v[58:59], v[56:57]
	v_fma_f64 v[56:57], v[124:125], s[24:25], -v[70:71]
	v_fma_f64 v[58:59], v[116:117], s[26:27], -v[118:119]
	v_add_f64 v[56:57], v[184:185], v[56:57]
	v_add_f64 v[56:57], v[58:59], v[56:57]
	v_fma_f64 v[58:59], v[216:217], s[18:19], v[74:75]
	v_add_f64 v[58:59], v[186:187], v[58:59]
	v_add_f64 v[58:59], v[60:61], v[58:59]
	v_fma_f64 v[60:61], v[206:207], s[2:3], -v[114:115]
	v_add_f64 v[56:57], v[60:61], v[56:57]
	v_fma_f64 v[60:61], v[234:235], s[34:35], v[96:97]
	v_add_f64 v[58:59], v[60:61], v[58:59]
	v_fma_f64 v[60:61], v[204:205], s[20:21], -v[62:63]
	v_add_f64 v[60:61], v[60:61], v[56:57]
	v_fma_f64 v[56:57], v[245:246], s[16:17], v[66:67]
	v_add_f64 v[68:69], v[56:57], v[58:59]
	v_mul_f64 v[56:57], v[182:183], s[44:45]
	v_fma_f64 v[58:59], v[196:197], s[30:31], -v[56:57]
	v_add_f64 v[60:61], v[58:59], v[60:61]
	v_mul_f64 v[58:59], v[128:129], s[30:31]
	v_mul_f64 v[128:129], v[128:129], s[24:25]
	v_fma_f64 v[72:73], v[190:191], s[44:45], v[58:59]
	v_add_f64 v[68:69], v[72:73], v[68:69]
	v_fma_f64 v[72:73], v[0:1], s[14:15], -v[122:123]
	v_add_f64 v[84:85], v[72:73], v[60:61]
	v_fma_f64 v[60:61], v[6:7], s[40:41], v[126:127]
	v_add_f64 v[86:87], v[60:61], v[68:69]
	v_fma_f64 v[60:61], v[124:125], s[26:27], -v[88:89]
	v_fma_f64 v[68:69], v[116:117], s[20:21], -v[132:133]
	v_add_f64 v[60:61], v[184:185], v[60:61]
	v_add_f64 v[60:61], v[68:69], v[60:61]
	v_fma_f64 v[68:69], v[216:217], s[22:23], v[90:91]
	v_add_f64 v[72:73], v[186:187], v[68:69]
	v_mul_f64 v[68:69], v[106:107], s[20:21]
	v_fma_f64 v[80:81], v[224:225], s[36:37], v[68:69]
	v_add_f64 v[80:81], v[80:81], v[72:73]
	v_fma_f64 v[72:73], v[206:207], s[14:15], -v[198:199]
	v_add_f64 v[60:61], v[72:73], v[60:61]
	v_mul_f64 v[72:73], v[14:15], s[14:15]
	v_fma_f64 v[92:93], v[234:235], s[12:13], v[72:73]
	v_add_f64 v[80:81], v[92:93], v[80:81]
	v_fma_f64 v[92:93], v[204:205], s[30:31], -v[230:231]
	v_add_f64 v[60:61], v[92:93], v[60:61]
	v_fma_f64 v[92:93], v[245:246], s[44:45], v[134:135]
	v_add_f64 v[80:81], v[92:93], v[80:81]
	v_fma_f64 v[92:93], v[196:197], s[2:3], -v[208:209]
	v_add_f64 v[92:93], v[92:93], v[60:61]
	v_fma_f64 v[60:61], v[190:191], s[34:35], v[222:223]
	v_add_f64 v[80:81], v[60:61], v[80:81]
	v_mul_f64 v[60:61], v[82:83], s[18:19]
	v_mul_f64 v[82:83], v[82:83], s[36:37]
	v_fma_f64 v[94:95], v[0:1], s[24:25], -v[60:61]
	v_add_f64 v[108:109], v[94:95], v[92:93]
	v_fma_f64 v[92:93], v[6:7], s[18:19], v[98:99]
	v_fma_f64 v[94:95], v[116:117], s[2:3], -v[238:239]
	v_add_f64 v[110:111], v[92:93], v[80:81]
	v_mul_f64 v[92:93], v[226:227], s[28:29]
	v_fma_f64 v[80:81], v[124:125], s[30:31], -v[92:93]
	v_add_f64 v[80:81], v[184:185], v[80:81]
	v_add_f64 v[243:244], v[94:95], v[80:81]
	v_mul_f64 v[94:95], v[228:229], s[30:31]
	v_mul_f64 v[80:81], v[106:107], s[2:3]
	;; [unrolled: 1-line block ×3, first 2 shown]
	v_fma_f64 v[106:107], v[216:217], s[28:29], v[94:95]
	v_fma_f64 v[226:227], v[224:225], s[34:35], v[80:81]
	v_add_f64 v[106:107], v[186:187], v[106:107]
	v_add_f64 v[106:107], v[226:227], v[106:107]
	v_mul_f64 v[226:227], v[10:11], s[22:23]
	v_fma_f64 v[10:11], v[206:207], s[26:27], -v[226:227]
	v_add_f64 v[243:244], v[10:11], v[243:244]
	v_fma_f64 v[10:11], v[234:235], s[22:23], v[228:229]
	v_add_f64 v[14:15], v[10:11], v[106:107]
	v_mul_f64 v[10:11], v[104:105], s[40:41]
	v_fma_f64 v[106:107], v[245:246], s[40:41], v[48:49]
	v_fma_f64 v[104:105], v[204:205], s[14:15], -v[10:11]
	v_add_f64 v[106:107], v[106:107], v[14:15]
	v_mul_f64 v[14:15], v[182:183], s[18:19]
	v_add_f64 v[104:105], v[104:105], v[243:244]
	v_fma_f64 v[182:183], v[196:197], s[24:25], -v[14:15]
	v_add_f64 v[104:105], v[182:183], v[104:105]
	v_fma_f64 v[182:183], v[190:191], s[18:19], v[128:129]
	v_add_f64 v[106:107], v[182:183], v[106:107]
	v_mul_f64 v[182:183], v[102:103], s[20:21]
	v_fma_f64 v[102:103], v[0:1], s[20:21], -v[82:83]
	v_add_f64 v[104:105], v[102:103], v[104:105]
	v_fma_f64 v[102:103], v[6:7], s[36:37], v[182:183]
	v_add_f64 v[106:107], v[102:103], v[106:107]
	s_and_saveexec_b32 s33, s0
	s_cbranch_execz .LBB0_25
; %bb.24:
	v_mul_f64 v[102:103], v[216:217], s[28:29]
	v_add_f64 v[94:95], v[94:95], -v[102:103]
	v_mul_f64 v[102:103], v[124:125], s[30:31]
	v_add_f64 v[94:95], v[186:187], v[94:95]
	v_add_f64 v[92:93], v[102:103], v[92:93]
	v_mul_f64 v[102:103], v[216:217], s[22:23]
	v_add_f64 v[92:93], v[184:185], v[92:93]
	v_add_f64 v[90:91], v[90:91], -v[102:103]
	v_mul_f64 v[102:103], v[124:125], s[26:27]
	v_add_f64 v[90:91], v[186:187], v[90:91]
	v_add_f64 v[88:89], v[102:103], v[88:89]
	v_mul_f64 v[102:103], v[216:217], s[18:19]
	v_add_f64 v[88:89], v[184:185], v[88:89]
	;; [unrolled: 6-line block ×4, first 2 shown]
	v_add_f64 v[64:65], v[64:65], -v[130:131]
	v_mul_f64 v[130:131], v[124:125], s[14:15]
	v_mul_f64 v[124:125], v[124:125], s[2:3]
	v_add_f64 v[64:65], v[186:187], v[64:65]
	v_add_f64 v[130:131], v[130:131], v[170:171]
	v_mul_f64 v[170:171], v[216:217], s[4:5]
	s_clause 0x1
	buffer_load_dword v216, off, s[48:51], 0 offset:636
	buffer_load_dword v217, off, s[48:51], 0 offset:640
	v_add_f64 v[130:131], v[184:185], v[130:131]
	s_waitcnt vmcnt(0)
	v_add_f64 v[170:171], v[216:217], -v[170:171]
	s_clause 0x1
	buffer_load_dword v216, off, s[48:51], 0 offset:508
	buffer_load_dword v217, off, s[48:51], 0 offset:512
	v_add_f64 v[170:171], v[186:187], v[170:171]
	s_waitcnt vmcnt(0)
	v_add_f64 v[124:125], v[124:125], v[216:217]
	s_clause 0x3
	buffer_load_dword v216, off, s[48:51], 0 offset:444
	buffer_load_dword v217, off, s[48:51], 0 offset:448
	;; [unrolled: 1-line block ×4, first 2 shown]
	v_add_f64 v[124:125], v[184:185], v[124:125]
	s_waitcnt vmcnt(2)
	v_add_f64 v[216:217], v[186:187], v[216:217]
	s_waitcnt vmcnt(0)
	v_add_f64 v[243:244], v[184:185], v[243:244]
	s_clause 0x3
	buffer_load_dword v184, off, s[48:51], 0 offset:460
	buffer_load_dword v185, off, s[48:51], 0 offset:464
	;; [unrolled: 1-line block ×4, first 2 shown]
	s_waitcnt vmcnt(2)
	v_add_f64 v[184:185], v[216:217], v[184:185]
	v_mul_f64 v[216:217], v[224:225], s[34:35]
	s_waitcnt vmcnt(0)
	v_add_f64 v[186:187], v[243:244], v[186:187]
	v_add_f64 v[80:81], v[80:81], -v[216:217]
	v_mul_f64 v[216:217], v[116:117], s[2:3]
	v_add_f64 v[180:181], v[186:187], v[180:181]
	v_mul_f64 v[186:187], v[206:207], s[14:15]
	v_add_f64 v[80:81], v[80:81], v[94:95]
	v_add_f64 v[216:217], v[216:217], v[238:239]
	s_clause 0x1
	buffer_load_dword v238, off, s[48:51], 0 offset:492
	buffer_load_dword v239, off, s[48:51], 0 offset:496
	v_add_f64 v[186:187], v[186:187], v[198:199]
	v_mul_f64 v[198:199], v[116:117], s[26:27]
	v_add_f64 v[92:93], v[216:217], v[92:93]
	v_add_f64 v[118:119], v[198:199], v[118:119]
	v_mul_f64 v[198:199], v[224:225], s[28:29]
	v_add_f64 v[70:71], v[118:119], v[70:71]
	v_add_f64 v[168:169], v[168:169], -v[198:199]
	v_mul_f64 v[198:199], v[224:225], s[18:19]
	v_add_f64 v[36:37], v[36:37], -v[198:199]
	v_mul_f64 v[198:199], v[116:117], s[24:25]
	v_add_f64 v[36:37], v[36:37], v[64:65]
	v_add_f64 v[32:33], v[198:199], v[32:33]
	v_mul_f64 v[198:199], v[224:225], s[12:13]
	v_add_f64 v[32:33], v[32:33], v[130:131]
	s_waitcnt vmcnt(0)
	v_add_f64 v[184:185], v[184:185], v[238:239]
	v_mul_f64 v[238:239], v[6:7], s[36:37]
	v_add_f64 v[184:185], v[184:185], v[194:195]
	v_mul_f64 v[194:195], v[116:117], s[20:21]
	v_add_f64 v[182:183], v[182:183], -v[238:239]
	v_mul_f64 v[238:239], v[234:235], s[22:23]
	v_add_f64 v[132:133], v[194:195], v[132:133]
	v_mul_f64 v[194:195], v[224:225], s[38:39]
	v_add_f64 v[228:229], v[228:229], -v[238:239]
	v_mul_f64 v[238:239], v[206:207], s[26:27]
	v_add_f64 v[88:89], v[132:133], v[88:89]
	v_add_f64 v[194:195], v[212:213], -v[194:195]
	s_clause 0x1
	buffer_load_dword v212, off, s[48:51], 0 offset:628
	buffer_load_dword v213, off, s[48:51], 0 offset:632
	v_add_f64 v[226:227], v[238:239], v[226:227]
	v_mul_f64 v[238:239], v[190:191], s[18:19]
	v_add_f64 v[80:81], v[228:229], v[80:81]
	v_add_f64 v[74:75], v[194:195], v[74:75]
	;; [unrolled: 1-line block ×3, first 2 shown]
	v_add_f64 v[128:129], v[128:129], -v[238:239]
	v_mul_f64 v[238:239], v[245:246], s[40:41]
	v_add_f64 v[48:49], v[48:49], -v[238:239]
	v_mul_f64 v[238:239], v[0:1], s[20:21]
	v_add_f64 v[48:49], v[48:49], v[80:81]
	v_add_f64 v[82:83], v[238:239], v[82:83]
	v_mul_f64 v[238:239], v[196:197], s[24:25]
	v_mul_f64 v[80:81], v[196:197], s[26:27]
	v_add_f64 v[48:49], v[128:129], v[48:49]
	v_add_f64 v[14:15], v[238:239], v[14:15]
	v_mul_f64 v[238:239], v[204:205], s[14:15]
	v_add_f64 v[10:11], v[238:239], v[10:11]
	v_mul_f64 v[238:239], v[234:235], s[12:13]
	v_add_f64 v[10:11], v[10:11], v[92:93]
	v_add_f64 v[72:73], v[72:73], -v[238:239]
	v_mul_f64 v[238:239], v[224:225], s[36:37]
	s_clause 0x1
	buffer_load_dword v224, off, s[48:51], 0 offset:516
	buffer_load_dword v225, off, s[48:51], 0 offset:520
	v_add_f64 v[10:11], v[14:15], v[10:11]
	v_add_f64 v[68:69], v[68:69], -v[238:239]
	v_add_f64 v[68:69], v[68:69], v[90:91]
	v_add_f64 v[90:91], v[168:169], v[102:103]
	;; [unrolled: 1-line block ×3, first 2 shown]
	s_waitcnt vmcnt(2)
	v_add_f64 v[198:199], v[212:213], -v[198:199]
	v_mul_f64 v[212:213], v[116:117], s[14:15]
	v_mul_f64 v[116:117], v[116:117], s[30:31]
	v_add_f64 v[64:65], v[198:199], v[170:171]
	v_add_f64 v[54:55], v[116:117], v[54:55]
	;; [unrolled: 1-line block ×4, first 2 shown]
	v_mul_f64 v[184:185], v[234:235], s[34:35]
	s_clause 0x1
	buffer_load_dword v214, off, s[48:51], 0 offset:300
	buffer_load_dword v215, off, s[48:51], 0 offset:304
	v_mul_f64 v[220:221], v[245:246], s[16:17]
	v_add_f64 v[54:55], v[54:55], v[112:113]
	v_add_f64 v[116:117], v[116:117], v[232:233]
	;; [unrolled: 1-line block ×3, first 2 shown]
	v_add_f64 v[96:97], v[96:97], -v[184:185]
	v_mul_f64 v[184:185], v[206:207], s[2:3]
	v_add_f64 v[66:67], v[66:67], -v[220:221]
	v_mul_f64 v[220:221], v[204:205], s[20:21]
	v_add_f64 v[94:95], v[116:117], v[236:237]
	v_add_f64 v[116:117], v[180:181], v[240:241]
	v_add_f64 v[72:73], v[96:97], v[74:75]
	v_add_f64 v[114:115], v[184:185], v[114:115]
	v_mul_f64 v[184:185], v[234:235], s[42:43]
	v_add_f64 v[62:63], v[220:221], v[62:63]
	v_mul_f64 v[220:221], v[245:246], s[34:35]
	v_mul_f64 v[180:181], v[196:197], s[2:3]
	v_add_f64 v[94:95], v[94:95], v[249:250]
	v_add_f64 v[112:113], v[116:117], v[202:203]
	v_mul_f64 v[116:117], v[196:197], s[14:15]
	v_add_f64 v[66:67], v[66:67], v[72:73]
	v_add_f64 v[52:53], v[52:53], -v[184:185]
	v_mul_f64 v[184:185], v[206:207], s[24:25]
	v_add_f64 v[120:121], v[120:121], -v[220:221]
	v_mul_f64 v[220:221], v[204:205], s[2:3]
	v_mul_f64 v[72:73], v[0:1], s[14:15]
	v_add_f64 v[180:181], v[180:181], v[208:209]
	v_mul_f64 v[208:209], v[190:191], s[44:45]
	v_add_f64 v[74:75], v[112:113], v[210:211]
	v_add_f64 v[34:35], v[116:117], v[34:35]
	v_mul_f64 v[116:117], v[190:191], s[36:37]
	v_add_f64 v[52:53], v[52:53], v[90:91]
	;; [unrolled: 3-line block ×3, first 2 shown]
	v_mul_f64 v[220:221], v[245:246], s[38:39]
	v_mul_f64 v[90:91], v[6:7], s[34:35]
	v_add_f64 v[58:59], v[58:59], -v[208:209]
	v_mul_f64 v[208:209], v[196:197], s[30:31]
	v_add_f64 v[18:19], v[18:19], -v[116:117]
	v_mul_f64 v[116:117], v[196:197], s[20:21]
	v_add_f64 v[52:53], v[120:121], v[52:53]
	v_add_f64 v[30:31], v[30:31], -v[184:185]
	v_mul_f64 v[184:185], v[206:207], s[30:31]
	s_waitcnt vmcnt(2)
	v_add_f64 v[212:213], v[212:213], v[224:225]
	s_clause 0x1
	buffer_load_dword v224, off, s[48:51], 0 offset:220
	buffer_load_dword v225, off, s[48:51], 0 offset:224
	v_add_f64 v[22:23], v[22:23], -v[220:221]
	v_mul_f64 v[220:221], v[204:205], s[26:27]
	v_mul_f64 v[206:207], v[206:207], s[20:21]
	v_add_f64 v[56:57], v[208:209], v[56:57]
	v_mul_f64 v[208:209], v[190:191], s[12:13]
	v_add_f64 v[12:13], v[12:13], -v[90:91]
	v_add_f64 v[58:59], v[58:59], v[66:67]
	v_add_f64 v[16:17], v[116:117], v[16:17]
	v_mul_f64 v[116:117], v[190:191], s[22:23]
	v_add_f64 v[30:31], v[30:31], v[36:37]
	v_add_f64 v[28:29], v[184:185], v[28:29]
	v_mul_f64 v[184:185], v[234:235], s[16:17]
	;; [unrolled: 3-line block ×3, first 2 shown]
	v_add_f64 v[38:39], v[38:39], -v[208:209]
	v_add_f64 v[116:117], v[188:189], -v[116:117]
	v_add_f64 v[22:23], v[22:23], v[30:31]
	v_add_f64 v[28:29], v[28:29], v[32:33]
	;; [unrolled: 1-line block ×4, first 2 shown]
	s_clause 0x5
	buffer_load_dword v88, off, s[48:51], 0 offset:204
	buffer_load_dword v89, off, s[48:51], 0 offset:208
	buffer_load_dword v14, off, s[48:51], 0 offset:380
	buffer_load_dword v15, off, s[48:51], 0 offset:384
	buffer_load_dword v92, off, s[48:51], 0 offset:268
	buffer_load_dword v93, off, s[48:51], 0 offset:272
	v_add_f64 v[184:185], v[253:254], -v[184:185]
	v_add_f64 v[50:51], v[114:115], v[70:71]
	v_add_f64 v[70:71], v[94:95], v[200:201]
	v_add_f64 v[220:221], v[247:248], -v[220:221]
	v_add_f64 v[38:39], v[38:39], v[52:53]
	v_add_f64 v[18:19], v[18:19], v[22:23]
	;; [unrolled: 1-line block ×4, first 2 shown]
	v_mul_f64 v[32:33], v[0:1], s[24:25]
	v_add_f64 v[36:37], v[184:185], v[64:65]
	v_add_f64 v[50:51], v[62:63], v[50:51]
	;; [unrolled: 1-line block ×3, first 2 shown]
	v_mul_f64 v[62:63], v[6:7], s[40:41]
	v_add_f64 v[18:19], v[12:13], v[18:19]
	v_add_f64 v[16:17], v[16:17], v[20:21]
	v_add_f64 v[32:33], v[32:33], v[60:61]
	v_add_f64 v[30:31], v[220:221], v[36:37]
	v_add_f64 v[60:61], v[126:127], -v[62:63]
	v_add_f64 v[62:63], v[72:73], v[122:123]
	v_add_f64 v[22:23], v[116:117], v[30:31]
	s_waitcnt vmcnt(8)
	v_add_f64 v[206:207], v[206:207], v[214:215]
	v_mul_f64 v[214:215], v[245:246], s[44:45]
	v_add_f64 v[64:65], v[206:207], v[102:103]
	v_add_f64 v[134:135], v[134:135], -v[214:215]
	v_mul_f64 v[214:215], v[204:205], s[30:31]
	v_mul_f64 v[204:205], v[204:205], s[24:25]
	v_add_f64 v[68:69], v[134:135], v[68:69]
	v_add_f64 v[214:215], v[214:215], v[230:231]
	;; [unrolled: 1-line block ×3, first 2 shown]
	s_waitcnt vmcnt(6)
	v_add_f64 v[204:205], v[204:205], v[224:225]
	v_mul_f64 v[224:225], v[190:191], s[34:35]
	v_add_f64 v[36:37], v[204:205], v[64:65]
	v_mul_f64 v[64:65], v[6:7], s[22:23]
	v_add_f64 v[222:223], v[222:223], -v[224:225]
	v_add_f64 v[25:26], v[26:27], -v[64:65]
	s_waitcnt vmcnt(2)
	v_add_f64 v[14:15], v[74:75], v[14:15]
	v_mul_f64 v[74:75], v[0:1], s[26:27]
	s_waitcnt vmcnt(0)
	v_add_f64 v[70:71], v[70:71], v[92:93]
	v_mul_f64 v[92:93], v[0:1], s[2:3]
	v_mul_f64 v[0:1], v[0:1], s[30:31]
	v_add_f64 v[27:28], v[34:35], v[28:29]
	v_add_f64 v[34:35], v[56:57], v[50:51]
	;; [unrolled: 1-line block ×4, first 2 shown]
	v_mul_f64 v[88:89], v[6:7], s[18:19]
	v_mul_f64 v[6:7], v[6:7], s[28:29]
	v_add_f64 v[68:69], v[222:223], v[68:69]
	v_add_f64 v[52:53], v[74:75], v[100:101]
	v_add_f64 v[8:9], v[92:93], v[8:9]
	v_add_f64 v[30:31], v[0:1], v[2:3]
	s_clause 0x1
	buffer_load_dword v0, off, s[48:51], 0 offset:412
	buffer_load_dword v1, off, s[48:51], 0 offset:416
	v_add_f64 v[2:3], v[182:183], v[48:49]
	v_add_f64 v[36:37], v[80:81], v[36:37]
	v_add_f64 v[88:89], v[98:99], -v[88:89]
	v_add_f64 v[4:5], v[4:5], -v[6:7]
	v_add_f64 v[12:13], v[52:53], v[27:28]
	v_add_f64 v[16:17], v[8:9], v[16:17]
	;; [unrolled: 1-line block ×7, first 2 shown]
	s_waitcnt vmcnt(0)
	v_add_f64 v[54:55], v[14:15], v[0:1]
	s_clause 0x1
	buffer_load_dword v0, off, s[48:51], 0 offset:364
	buffer_load_dword v1, off, s[48:51], 0 offset:368
	v_add_f64 v[14:15], v[25:26], v[38:39]
	s_waitcnt vmcnt(0)
	v_add_f64 v[56:57], v[70:71], v[0:1]
	s_clause 0x2
	buffer_load_dword v0, off, s[48:51], 0 offset:200
	buffer_load_dword v25, off, s[48:51], 0 offset:428
	;; [unrolled: 1-line block ×3, first 2 shown]
	s_waitcnt vmcnt(2)
	v_mul_u32_u24_e32 v29, 26, v0
	s_waitcnt vmcnt(0)
	v_add_f64 v[27:28], v[54:55], v[25:26]
	s_clause 0x2
	buffer_load_dword v25, off, s[48:51], 0 offset:396
	buffer_load_dword v26, off, s[48:51], 0 offset:400
	buffer_load_dword v30, off, s[48:51], 0 offset:196
	v_add_f64 v[0:1], v[82:83], v[10:11]
	v_add_f64 v[10:11], v[60:61], v[58:59]
	s_waitcnt vmcnt(1)
	v_add_f64 v[25:26], v[56:57], v[25:26]
	s_waitcnt vmcnt(0)
	v_or_b32_e32 v29, v29, v30
	v_lshlrev_b32_e32 v29, 4, v29
	ds_write_b128 v29, v[104:107] offset:224
	ds_write_b128 v29, v[108:111] offset:256
	;; [unrolled: 1-line block ×11, first 2 shown]
	ds_write_b128 v29, v[25:28]
	ds_write_b128 v29, v[40:43] offset:384
.LBB0_25:
	s_or_b32 exec_lo, exec_lo, s33
	s_waitcnt lgkmcnt(0)
	s_barrier
	buffer_gl0_inv
	ds_read_b128 v[112:115], v255
	ds_read_b128 v[132:135], v255 offset:4576
	ds_read_b128 v[128:131], v255 offset:9152
	;; [unrolled: 1-line block ×6, first 2 shown]
	s_and_saveexec_b32 s0, s1
	s_cbranch_execz .LBB0_27
; %bb.26:
	ds_read_b128 v[104:107], v255 offset:2912
	ds_read_b128 v[108:111], v255 offset:7488
	;; [unrolled: 1-line block ×7, first 2 shown]
	s_waitcnt lgkmcnt(0)
	buffer_store_dword v0, off, s[48:51], 0 offset:4 ; 4-byte Folded Spill
	buffer_store_dword v1, off, s[48:51], 0 offset:8 ; 4-byte Folded Spill
	;; [unrolled: 1-line block ×4, first 2 shown]
.LBB0_27:
	s_or_b32 exec_lo, exec_lo, s0
	s_clause 0x7
	buffer_load_dword v48, off, s[48:51], 0 offset:316
	buffer_load_dword v49, off, s[48:51], 0 offset:320
	;; [unrolled: 1-line block ×8, first 2 shown]
	s_mov_b32 s12, 0x37e14327
	s_mov_b32 s16, 0xe976ee23
	s_mov_b32 s13, 0x3fe948f6
	s_mov_b32 s17, 0x3fe11646
	s_mov_b32 s4, 0x36b3c0b5
	s_mov_b32 s2, 0x429ad128
	s_mov_b32 s14, 0xaaaaaaaa
	s_mov_b32 s22, 0xb247c609
	s_mov_b32 s5, 0x3fac98ee
	s_mov_b32 s3, 0xbfebfeb5
	s_mov_b32 s15, 0xbff2aaaa
	s_mov_b32 s23, 0xbfd5d0dc
	s_mov_b32 s18, 0x5476071b
	s_mov_b32 s26, 0x37c3f68c
	s_mov_b32 s19, 0x3fe77f67
	s_mov_b32 s21, 0xbfe77f67
	s_mov_b32 s25, 0x3fd5d0dc
	s_mov_b32 s20, s18
	s_mov_b32 s24, s22
	s_mov_b32 s27, 0xbfdc38aa
	s_waitcnt vmcnt(4) lgkmcnt(5)
	v_mul_f64 v[0:1], v[50:51], v[134:135]
	v_mul_f64 v[2:3], v[50:51], v[132:133]
	s_waitcnt vmcnt(0) lgkmcnt(4)
	v_mul_f64 v[4:5], v[35:36], v[130:131]
	v_mul_f64 v[6:7], v[35:36], v[128:129]
	s_clause 0xf
	buffer_load_dword v50, off, s[48:51], 0 offset:348
	buffer_load_dword v51, off, s[48:51], 0 offset:352
	;; [unrolled: 1-line block ×16, first 2 shown]
	s_waitcnt vmcnt(0) lgkmcnt(0)
	s_waitcnt_vscnt null, 0x0
	s_barrier
	buffer_gl0_inv
	v_fma_f64 v[0:1], v[48:49], v[132:133], v[0:1]
	v_fma_f64 v[2:3], v[48:49], v[134:135], -v[2:3]
	v_fma_f64 v[4:5], v[33:34], v[128:129], v[4:5]
	v_fma_f64 v[6:7], v[33:34], v[130:131], -v[6:7]
	v_mul_f64 v[10:11], v[52:53], v[180:181]
	v_mul_f64 v[14:15], v[37:38], v[124:125]
	;; [unrolled: 1-line block ×8, first 2 shown]
	v_fma_f64 v[10:11], v[50:51], v[182:183], -v[10:11]
	v_fma_f64 v[14:15], v[35:36], v[126:127], -v[14:15]
	v_fma_f64 v[8:9], v[50:51], v[180:181], v[8:9]
	v_fma_f64 v[12:13], v[35:36], v[124:125], v[12:13]
	;; [unrolled: 1-line block ×3, first 2 shown]
	v_fma_f64 v[18:19], v[29:30], v[122:123], -v[18:19]
	v_fma_f64 v[20:21], v[25:26], v[116:117], v[20:21]
	v_fma_f64 v[22:23], v[25:26], v[118:119], -v[22:23]
	v_add_f64 v[27:28], v[2:3], v[10:11]
	v_add_f64 v[31:32], v[6:7], v[14:15]
	;; [unrolled: 1-line block ×4, first 2 shown]
	v_add_f64 v[4:5], v[4:5], -v[12:13]
	v_add_f64 v[6:7], v[6:7], -v[14:15]
	v_add_f64 v[12:13], v[16:17], v[20:21]
	v_add_f64 v[14:15], v[18:19], v[22:23]
	v_add_f64 v[16:17], v[20:21], -v[16:17]
	v_add_f64 v[18:19], v[22:23], -v[18:19]
	;; [unrolled: 1-line block ×4, first 2 shown]
	v_add_f64 v[2:3], v[31:32], v[27:28]
	v_add_f64 v[0:1], v[29:30], v[25:26]
	v_add_f64 v[20:21], v[25:26], -v[12:13]
	v_add_f64 v[22:23], v[27:28], -v[14:15]
	;; [unrolled: 1-line block ×6, first 2 shown]
	v_add_f64 v[4:5], v[16:17], v[4:5]
	v_add_f64 v[6:7], v[18:19], v[6:7]
	v_add_f64 v[16:17], v[8:9], -v[16:17]
	v_add_f64 v[18:19], v[10:11], -v[18:19]
	;; [unrolled: 1-line block ×4, first 2 shown]
	v_add_f64 v[52:53], v[14:15], v[2:3]
	v_add_f64 v[14:15], v[14:15], -v[31:32]
	v_add_f64 v[50:51], v[12:13], v[0:1]
	v_add_f64 v[12:13], v[12:13], -v[29:30]
	v_mul_f64 v[20:21], v[20:21], s[12:13]
	v_mul_f64 v[22:23], v[22:23], s[12:13]
	;; [unrolled: 1-line block ×6, first 2 shown]
	v_add_f64 v[4:5], v[4:5], v[8:9]
	v_add_f64 v[6:7], v[6:7], v[10:11]
	v_add_f64 v[2:3], v[114:115], v[52:53]
	v_mul_f64 v[31:32], v[14:15], s[4:5]
	v_add_f64 v[0:1], v[112:113], v[50:51]
	v_mul_f64 v[29:30], v[12:13], s[4:5]
	v_fma_f64 v[8:9], v[12:13], s[4:5], v[20:21]
	v_fma_f64 v[10:11], v[14:15], s[4:5], v[22:23]
	;; [unrolled: 1-line block ×4, first 2 shown]
	v_fma_f64 v[35:36], v[48:49], s[2:3], -v[35:36]
	v_fma_f64 v[18:19], v[18:19], s[24:25], -v[56:57]
	;; [unrolled: 1-line block ×6, first 2 shown]
	v_fma_f64 v[48:49], v[52:53], s[14:15], v[2:3]
	v_fma_f64 v[27:28], v[27:28], s[18:19], -v[31:32]
	v_fma_f64 v[37:38], v[50:51], s[14:15], v[0:1]
	v_fma_f64 v[25:26], v[25:26], s[18:19], -v[29:30]
	v_fma_f64 v[29:30], v[4:5], s[26:27], v[12:13]
	v_fma_f64 v[31:32], v[6:7], s[26:27], v[14:15]
	;; [unrolled: 1-line block ×6, first 2 shown]
	v_add_f64 v[56:57], v[10:11], v[48:49]
	v_add_f64 v[18:19], v[27:28], v[48:49]
	v_add_f64 v[54:55], v[8:9], v[37:38]
	v_add_f64 v[20:21], v[20:21], v[37:38]
	v_add_f64 v[22:23], v[22:23], v[48:49]
	v_add_f64 v[16:17], v[25:26], v[37:38]
	v_add_f64 v[6:7], v[56:57], -v[29:30]
	v_add_f64 v[27:28], v[29:30], v[56:57]
	buffer_load_dword v29, off, s[48:51], 0 offset:528 ; 4-byte Folded Reload
	v_add_f64 v[4:5], v[31:32], v[54:55]
	v_add_f64 v[8:9], v[52:53], v[20:21]
	v_add_f64 v[10:11], v[22:23], -v[50:51]
	v_add_f64 v[12:13], v[16:17], -v[35:36]
	v_add_f64 v[14:15], v[33:34], v[18:19]
	v_add_f64 v[16:17], v[35:36], v[16:17]
	v_add_f64 v[18:19], v[18:19], -v[33:34]
	v_add_f64 v[20:21], v[20:21], -v[52:53]
	v_add_f64 v[22:23], v[50:51], v[22:23]
	v_add_f64 v[25:26], v[54:55], -v[31:32]
	s_waitcnt vmcnt(0)
	ds_write_b128 v29, v[0:3]
	ds_write_b128 v29, v[4:7] offset:416
	ds_write_b128 v29, v[8:11] offset:832
	;; [unrolled: 1-line block ×6, first 2 shown]
	s_and_saveexec_b32 s0, s1
	s_cbranch_execz .LBB0_29
; %bb.28:
	s_clause 0x1b
	buffer_load_dword v52, off, s[48:51], 0 offset:596
	buffer_load_dword v53, off, s[48:51], 0 offset:600
	;; [unrolled: 1-line block ×28, first 2 shown]
	s_waitcnt vmcnt(22)
	v_mul_f64 v[0:1], v[54:55], v[60:61]
	s_waitcnt vmcnt(16)
	v_mul_f64 v[2:3], v[50:51], v[108:109]
	;; [unrolled: 2-line block ×4, first 2 shown]
	v_mul_f64 v[8:9], v[50:51], v[110:111]
	v_mul_f64 v[10:11], v[54:55], v[62:63]
	;; [unrolled: 1-line block ×4, first 2 shown]
	s_waitcnt vmcnt(4)
	v_mul_f64 v[16:17], v[27:28], v[46:47]
	s_waitcnt vmcnt(0)
	v_mul_f64 v[18:19], v[31:32], v[78:79]
	v_mul_f64 v[20:21], v[31:32], v[76:77]
	v_mul_f64 v[22:23], v[27:28], v[44:45]
	v_fma_f64 v[0:1], v[52:53], v[62:63], -v[0:1]
	v_fma_f64 v[2:3], v[48:49], v[110:111], -v[2:3]
	;; [unrolled: 1-line block ×4, first 2 shown]
	v_fma_f64 v[8:9], v[48:49], v[108:109], v[8:9]
	v_fma_f64 v[10:11], v[52:53], v[60:61], v[10:11]
	;; [unrolled: 1-line block ×6, first 2 shown]
	v_fma_f64 v[20:21], v[29:30], v[78:79], -v[20:21]
	v_fma_f64 v[22:23], v[25:26], v[46:47], -v[22:23]
	v_add_f64 v[25:26], v[2:3], v[0:1]
	v_add_f64 v[27:28], v[6:7], v[4:5]
	v_add_f64 v[4:5], v[6:7], -v[4:5]
	v_add_f64 v[29:30], v[8:9], v[10:11]
	v_add_f64 v[8:9], v[8:9], -v[10:11]
	;; [unrolled: 2-line block ×3, first 2 shown]
	v_add_f64 v[33:34], v[16:17], -v[18:19]
	v_add_f64 v[16:17], v[18:19], v[16:17]
	v_add_f64 v[14:15], v[20:21], v[22:23]
	v_add_f64 v[18:19], v[22:23], -v[20:21]
	v_add_f64 v[6:7], v[2:3], -v[0:1]
	v_add_f64 v[10:11], v[27:28], v[25:26]
	v_add_f64 v[0:1], v[31:32], v[29:30]
	v_add_f64 v[35:36], v[12:13], -v[8:9]
	v_add_f64 v[2:3], v[33:34], -v[12:13]
	;; [unrolled: 1-line block ×7, first 2 shown]
	v_add_f64 v[12:13], v[33:34], v[12:13]
	v_add_f64 v[4:5], v[18:19], v[4:5]
	v_add_f64 v[18:19], v[6:7], -v[18:19]
	v_add_f64 v[25:26], v[27:28], -v[25:26]
	;; [unrolled: 1-line block ×3, first 2 shown]
	v_add_f64 v[10:11], v[14:15], v[10:11]
	v_add_f64 v[14:15], v[14:15], -v[27:28]
	v_add_f64 v[41:42], v[16:17], v[0:1]
	v_add_f64 v[16:17], v[16:17], -v[31:32]
	v_mul_f64 v[33:34], v[2:3], s[16:17]
	v_mul_f64 v[22:23], v[22:23], s[12:13]
	;; [unrolled: 1-line block ×6, first 2 shown]
	v_add_f64 v[8:9], v[12:13], v[8:9]
	v_add_f64 v[4:5], v[4:5], v[6:7]
	;; [unrolled: 1-line block ×3, first 2 shown]
	v_mul_f64 v[27:28], v[14:15], s[4:5]
	v_add_f64 v[0:1], v[104:105], v[41:42]
	v_mul_f64 v[31:32], v[16:17], s[4:5]
	v_fma_f64 v[6:7], v[43:44], s[22:23], v[33:34]
	v_fma_f64 v[33:34], v[35:36], s[2:3], -v[33:34]
	v_fma_f64 v[12:13], v[14:15], s[4:5], v[20:21]
	v_fma_f64 v[14:15], v[16:17], s[4:5], v[22:23]
	v_fma_f64 v[16:17], v[43:44], s[24:25], -v[45:46]
	v_fma_f64 v[20:21], v[25:26], s[20:21], -v[20:21]
	;; [unrolled: 1-line block ×4, first 2 shown]
	v_fma_f64 v[10:11], v[10:11], s[14:15], v[2:3]
	v_fma_f64 v[25:26], v[25:26], s[18:19], -v[27:28]
	v_fma_f64 v[27:28], v[18:19], s[22:23], v[37:38]
	v_fma_f64 v[18:19], v[18:19], s[24:25], -v[47:48]
	v_fma_f64 v[37:38], v[41:42], s[14:15], v[0:1]
	v_fma_f64 v[29:30], v[29:30], s[18:19], -v[31:32]
	v_fma_f64 v[31:32], v[8:9], s[26:27], v[6:7]
	v_fma_f64 v[16:17], v[8:9], s[26:27], v[16:17]
	;; [unrolled: 1-line block ×3, first 2 shown]
	v_add_f64 v[12:13], v[12:13], v[10:11]
	v_add_f64 v[20:21], v[20:21], v[10:11]
	v_fma_f64 v[33:34], v[4:5], s[26:27], v[27:28]
	v_fma_f64 v[39:40], v[4:5], s[26:27], v[18:19]
	;; [unrolled: 1-line block ×3, first 2 shown]
	v_add_f64 v[29:30], v[29:30], v[37:38]
	v_add_f64 v[25:26], v[25:26], v[10:11]
	;; [unrolled: 1-line block ×6, first 2 shown]
	v_add_f64 v[22:23], v[20:21], -v[16:17]
	v_add_f64 v[27:28], v[12:13], -v[31:32]
	;; [unrolled: 1-line block ×3, first 2 shown]
	v_add_f64 v[12:13], v[4:5], v[29:30]
	buffer_load_dword v30, off, s[48:51], 0 offset:524 ; 4-byte Folded Reload
	v_add_f64 v[14:15], v[25:26], -v[8:9]
	v_add_f64 v[18:19], v[8:9], v[25:26]
	v_add_f64 v[25:26], v[33:34], v[35:36]
	;; [unrolled: 1-line block ×3, first 2 shown]
	v_add_f64 v[8:9], v[41:42], -v[39:40]
	v_add_f64 v[4:5], v[35:36], -v[33:34]
	v_mov_b32_e32 v29, 4
	s_waitcnt vmcnt(0)
	v_lshlrev_b32_sdwa v29, v29, v30 dst_sel:DWORD dst_unused:UNUSED_PAD src0_sel:DWORD src1_sel:WORD_0
	ds_write_b128 v29, v[0:3]
	ds_write_b128 v29, v[25:28] offset:416
	ds_write_b128 v29, v[20:23] offset:832
	;; [unrolled: 1-line block ×6, first 2 shown]
.LBB0_29:
	s_or_b32 exec_lo, exec_lo, s0
	s_waitcnt lgkmcnt(0)
	s_barrier
	buffer_gl0_inv
	ds_read_b128 v[0:3], v255 offset:2912
	ds_read_b128 v[40:43], v255
	ds_read_b128 v[4:7], v255 offset:5824
	ds_read_b128 v[8:11], v255 offset:8736
	;; [unrolled: 1-line block ×9, first 2 shown]
	s_mov_b32 s2, 0xf8bb580b
	s_mov_b32 s4, 0x8764f0ba
	s_mov_b32 s12, 0x8eee2c13
	s_mov_b32 s16, 0xd9c712b6
	s_mov_b32 s3, 0xbfe14ced
	s_mov_b32 s5, 0x3feaeb8c
	s_mov_b32 s13, 0xbfed1bb4
	s_mov_b32 s17, 0x3fda9628
	s_mov_b32 s18, 0x43842ef
	s_waitcnt lgkmcnt(10)
	v_mul_f64 v[37:38], v[166:167], v[2:3]
	v_mul_f64 v[48:49], v[166:167], v[0:1]
	s_waitcnt lgkmcnt(8)
	v_mul_f64 v[52:53], v[154:155], v[6:7]
	v_mul_f64 v[54:55], v[154:155], v[4:5]
	;; [unrolled: 3-line block ×6, first 2 shown]
	v_mul_f64 v[56:57], v[174:175], v[35:36]
	v_mul_f64 v[78:79], v[150:151], v[20:21]
	;; [unrolled: 1-line block ×5, first 2 shown]
	s_mov_b32 s20, 0x640f44db
	s_mov_b32 s19, 0xbfefac9e
	;; [unrolled: 1-line block ×5, first 2 shown]
	v_fma_f64 v[37:38], v[164:165], v[0:1], v[37:38]
	v_fma_f64 v[48:49], v[164:165], v[2:3], -v[48:49]
	v_mul_f64 v[2:3], v[178:179], v[46:47]
	v_fma_f64 v[4:5], v[152:153], v[4:5], v[52:53]
	v_fma_f64 v[6:7], v[152:153], v[6:7], -v[54:55]
	v_mul_f64 v[54:55], v[146:147], v[16:17]
	v_fma_f64 v[10:11], v[140:141], v[10:11], -v[62:63]
	v_fma_f64 v[8:9], v[140:141], v[8:9], v[60:61]
	v_fma_f64 v[31:32], v[160:161], v[31:32], -v[66:67]
	v_fma_f64 v[29:30], v[160:161], v[29:30], v[64:65]
	v_fma_f64 v[0:1], v[176:177], v[46:47], -v[50:51]
	v_mul_f64 v[46:47], v[146:147], v[18:19]
	v_fma_f64 v[14:15], v[136:137], v[14:15], -v[70:71]
	v_fma_f64 v[35:36], v[172:173], v[35:36], -v[58:59]
	v_fma_f64 v[12:13], v[136:137], v[12:13], v[68:69]
	v_fma_f64 v[22:23], v[148:149], v[22:23], -v[78:79]
	v_fma_f64 v[20:21], v[148:149], v[20:21], v[76:77]
	v_fma_f64 v[33:34], v[172:173], v[33:34], v[56:57]
	;; [unrolled: 1-line block ×3, first 2 shown]
	v_fma_f64 v[27:28], v[156:157], v[27:28], -v[74:75]
	s_mov_b32 s26, 0x7f775887
	s_mov_b32 s28, 0xfd768dbf
	v_add_f64 v[50:51], v[40:41], v[37:38]
	v_add_f64 v[52:53], v[42:43], v[48:49]
	v_fma_f64 v[2:3], v[176:177], v[44:45], v[2:3]
	s_mov_b32 s34, 0x9bcd5057
	s_mov_b32 s1, 0x3fe14ced
	v_fma_f64 v[18:19], v[144:145], v[18:19], -v[54:55]
	s_mov_b32 s15, 0x3fed1bb4
	s_mov_b32 s27, 0xbfe4f49e
	v_add_f64 v[60:61], v[10:11], v[31:32]
	v_add_f64 v[64:65], v[10:11], -v[31:32]
	v_add_f64 v[58:59], v[8:9], v[29:30]
	v_fma_f64 v[16:17], v[144:145], v[16:17], v[46:47]
	v_add_f64 v[62:63], v[8:9], -v[29:30]
	v_add_f64 v[44:45], v[48:49], -v[0:1]
	v_add_f64 v[48:49], v[48:49], v[0:1]
	v_add_f64 v[56:57], v[6:7], -v[35:36]
	s_mov_b32 s29, 0xbfd207e7
	s_mov_b32 s35, 0xbfeeb42a
	;; [unrolled: 1-line block ×4, first 2 shown]
	v_add_f64 v[54:55], v[4:5], v[33:34]
	s_mov_b32 s25, 0x3fefac9e
	v_add_f64 v[46:47], v[50:51], v[4:5]
	v_add_f64 v[50:51], v[52:53], v[6:7]
	;; [unrolled: 1-line block ×3, first 2 shown]
	v_add_f64 v[37:38], v[37:38], -v[2:3]
	v_add_f64 v[6:7], v[6:7], v[35:36]
	v_add_f64 v[4:5], v[4:5], -v[33:34]
	s_mov_b32 s37, 0x3fd207e7
	s_mov_b32 s24, s18
	s_mov_b32 s36, s28
	s_mov_b32 s31, 0x3fe82f19
	s_mov_b32 s30, s22
	v_add_f64 v[68:69], v[14:15], v[27:28]
	v_add_f64 v[70:71], v[14:15], -v[27:28]
	v_mul_f64 v[72:73], v[44:45], s[2:3]
	v_mul_f64 v[74:75], v[48:49], s[4:5]
	;; [unrolled: 1-line block ×9, first 2 shown]
	v_add_f64 v[8:9], v[46:47], v[8:9]
	v_add_f64 v[10:11], v[50:51], v[10:11]
	v_mul_f64 v[46:47], v[44:45], s[18:19]
	v_mul_f64 v[50:51], v[48:49], s[20:21]
	;; [unrolled: 1-line block ×11, first 2 shown]
	v_fma_f64 v[114:115], v[52:53], s[4:5], v[72:73]
	v_fma_f64 v[116:117], v[37:38], s[0:1], v[74:75]
	v_fma_f64 v[72:73], v[52:53], s[4:5], -v[72:73]
	v_fma_f64 v[74:75], v[37:38], s[2:3], v[74:75]
	v_fma_f64 v[118:119], v[52:53], s[16:17], v[76:77]
	;; [unrolled: 1-line block ×5, first 2 shown]
	v_mul_f64 v[100:101], v[64:65], s[18:19]
	v_add_f64 v[8:9], v[8:9], v[12:13]
	v_add_f64 v[10:11], v[10:11], v[14:15]
	v_fma_f64 v[122:123], v[52:53], s[20:21], v[46:47]
	v_fma_f64 v[124:125], v[37:38], s[24:25], v[50:51]
	v_fma_f64 v[46:47], v[52:53], s[20:21], -v[46:47]
	v_fma_f64 v[50:51], v[37:38], s[18:19], v[50:51]
	v_mul_f64 v[102:103], v[60:61], s[20:21]
	v_mul_f64 v[106:107], v[60:61], s[34:35]
	v_fma_f64 v[76:77], v[52:53], s[16:17], -v[76:77]
	v_fma_f64 v[128:129], v[37:38], s[30:31], v[82:83]
	v_fma_f64 v[80:81], v[52:53], s[26:27], -v[80:81]
	v_fma_f64 v[82:83], v[37:38], s[22:23], v[82:83]
	v_fma_f64 v[130:131], v[52:53], s[34:35], v[44:45]
	;; [unrolled: 1-line block ×3, first 2 shown]
	v_fma_f64 v[44:45], v[52:53], s[34:35], -v[44:45]
	v_fma_f64 v[37:38], v[37:38], s[28:29], v[48:49]
	v_fma_f64 v[48:49], v[54:55], s[16:17], v[84:85]
	;; [unrolled: 1-line block ×4, first 2 shown]
	v_add_f64 v[114:115], v[40:41], v[114:115]
	v_add_f64 v[116:117], v[42:43], v[116:117]
	v_mul_f64 v[14:15], v[64:65], s[14:15]
	v_add_f64 v[8:9], v[8:9], v[16:17]
	v_add_f64 v[10:11], v[10:11], v[18:19]
	v_mul_f64 v[108:109], v[60:61], s[16:17]
	v_fma_f64 v[138:139], v[54:55], s[34:35], v[92:93]
	v_fma_f64 v[140:141], v[4:5], s[28:29], v[94:95]
	v_fma_f64 v[92:93], v[54:55], s[34:35], -v[92:93]
	v_fma_f64 v[94:95], v[4:5], s[36:37], v[94:95]
	v_add_f64 v[46:47], v[40:41], v[46:47]
	v_add_f64 v[50:51], v[42:43], v[50:51]
	v_mul_f64 v[110:111], v[64:65], s[2:3]
	v_fma_f64 v[84:85], v[54:55], s[16:17], -v[84:85]
	v_fma_f64 v[86:87], v[4:5], s[12:13], v[86:87]
	v_fma_f64 v[90:91], v[4:5], s[22:23], v[90:91]
	;; [unrolled: 1-line block ×3, first 2 shown]
	v_add_f64 v[78:79], v[42:43], v[78:79]
	v_mul_f64 v[104:105], v[64:65], s[36:37]
	v_mul_f64 v[112:113], v[60:61], s[4:5]
	v_fma_f64 v[134:135], v[54:55], s[26:27], v[88:89]
	v_fma_f64 v[88:89], v[54:55], s[26:27], -v[88:89]
	v_fma_f64 v[144:145], v[4:5], s[18:19], v[98:99]
	v_fma_f64 v[96:97], v[54:55], s[20:21], -v[96:97]
	v_fma_f64 v[98:99], v[4:5], s[24:25], v[98:99]
	v_add_f64 v[8:9], v[8:9], v[20:21]
	v_add_f64 v[10:11], v[10:11], v[22:23]
	v_fma_f64 v[146:147], v[54:55], s[4:5], v[56:57]
	v_fma_f64 v[148:149], v[4:5], s[2:3], v[6:7]
	v_fma_f64 v[54:55], v[54:55], s[4:5], -v[56:57]
	v_fma_f64 v[4:5], v[4:5], s[0:1], v[6:7]
	v_fma_f64 v[6:7], v[58:59], s[20:21], v[100:101]
	;; [unrolled: 1-line block ×4, first 2 shown]
	v_add_f64 v[76:77], v[40:41], v[76:77]
	v_add_f64 v[80:81], v[40:41], v[80:81]
	;; [unrolled: 1-line block ×4, first 2 shown]
	v_mul_f64 v[64:65], v[64:65], s[22:23]
	v_fma_f64 v[154:155], v[58:59], s[16:17], v[14:15]
	v_fma_f64 v[156:157], v[62:63], s[12:13], v[108:109]
	v_fma_f64 v[14:15], v[58:59], s[16:17], -v[14:15]
	v_fma_f64 v[108:109], v[62:63], s[14:15], v[108:109]
	v_add_f64 v[50:51], v[94:95], v[50:51]
	v_add_f64 v[66:67], v[12:13], v[25:26]
	v_mul_f64 v[60:61], v[60:61], s[26:27]
	v_fma_f64 v[100:101], v[58:59], s[20:21], -v[100:101]
	v_add_f64 v[8:9], v[8:9], v[25:26]
	v_add_f64 v[10:11], v[10:11], v[27:28]
	;; [unrolled: 1-line block ×16, first 2 shown]
	v_add_f64 v[12:13], v[12:13], -v[25:26]
	v_mul_f64 v[25:26], v[70:71], s[22:23]
	v_fma_f64 v[102:103], v[62:63], s[18:19], v[102:103]
	v_fma_f64 v[150:151], v[58:59], s[34:35], v[104:105]
	v_fma_f64 v[104:105], v[58:59], s[34:35], -v[104:105]
	v_add_f64 v[52:53], v[88:89], v[76:77]
	v_add_f64 v[8:9], v[8:9], v[29:30]
	;; [unrolled: 1-line block ×11, first 2 shown]
	v_fma_f64 v[106:107], v[62:63], s[36:37], v[106:107]
	v_add_f64 v[80:81], v[96:97], v[80:81]
	v_add_f64 v[39:40], v[54:55], v[39:40]
	;; [unrolled: 1-line block ×4, first 2 shown]
	v_fma_f64 v[41:42], v[62:63], s[0:1], v[112:113]
	v_mul_f64 v[54:55], v[68:69], s[20:21]
	v_add_f64 v[82:83], v[98:99], v[82:83]
	v_fma_f64 v[56:57], v[58:59], s[4:5], -v[110:111]
	v_fma_f64 v[90:91], v[62:63], s[2:3], v[112:113]
	v_add_f64 v[14:15], v[14:15], v[45:46]
	v_add_f64 v[45:46], v[108:109], v[50:51]
	;; [unrolled: 1-line block ×4, first 2 shown]
	v_fma_f64 v[35:36], v[58:59], s[4:5], v[110:111]
	v_mul_f64 v[33:34], v[68:69], s[26:27]
	v_add_f64 v[74:75], v[138:139], v[120:121]
	v_add_f64 v[43:44], v[152:153], v[48:49]
	v_mul_f64 v[47:48], v[70:71], s[24:25]
	v_fma_f64 v[49:50], v[58:59], s[26:27], -v[64:65]
	v_fma_f64 v[92:93], v[58:59], s[26:27], v[64:65]
	v_mul_f64 v[64:65], v[70:71], s[2:3]
	v_add_f64 v[76:77], v[140:141], v[122:123]
	v_add_f64 v[27:28], v[100:101], v[27:28]
	v_fma_f64 v[94:95], v[62:63], s[30:31], v[60:61]
	v_fma_f64 v[58:59], v[62:63], s[22:23], v[60:61]
	;; [unrolled: 1-line block ×3, first 2 shown]
	v_fma_f64 v[25:26], v[66:67], s[26:27], -v[25:26]
	v_add_f64 v[29:30], v[102:103], v[29:30]
	v_add_f64 v[31:32], v[150:151], v[31:32]
	;; [unrolled: 1-line block ×4, first 2 shown]
	v_fma_f64 v[96:97], v[12:13], s[18:19], v[54:55]
	v_add_f64 v[72:73], v[106:107], v[72:73]
	v_add_f64 v[56:57], v[56:57], v[80:81]
	v_fma_f64 v[54:55], v[12:13], s[24:25], v[54:55]
	v_add_f64 v[35:36], v[35:36], v[78:79]
	v_mul_f64 v[78:79], v[68:69], s[4:5]
	v_fma_f64 v[62:63], v[12:13], s[30:31], v[33:34]
	v_fma_f64 v[33:34], v[12:13], s[22:23], v[33:34]
	;; [unrolled: 1-line block ×3, first 2 shown]
	v_fma_f64 v[47:48], v[66:67], s[20:21], -v[47:48]
	v_add_f64 v[80:81], v[90:91], v[82:83]
	v_mul_f64 v[82:83], v[70:71], s[28:29]
	v_mul_f64 v[90:91], v[68:69], s[34:35]
	v_mul_f64 v[70:71], v[70:71], s[14:15]
	v_mul_f64 v[68:69], v[68:69], s[16:17]
	v_add_f64 v[39:40], v[49:50], v[39:40]
	v_add_f64 v[49:50], v[18:19], -v[22:23]
	v_add_f64 v[18:19], v[18:19], v[22:23]
	v_add_f64 v[74:75], v[154:155], v[74:75]
	v_fma_f64 v[22:23], v[66:67], s[4:5], v[64:65]
	v_add_f64 v[86:87], v[146:147], v[128:129]
	v_add_f64 v[88:89], v[148:149], v[130:131]
	;; [unrolled: 1-line block ×7, first 2 shown]
	v_fma_f64 v[27:28], v[12:13], s[0:1], v[78:79]
	v_add_f64 v[37:38], v[62:63], v[37:38]
	v_add_f64 v[58:59], v[33:34], v[29:30]
	v_fma_f64 v[33:34], v[66:67], s[4:5], -v[64:65]
	v_add_f64 v[29:30], v[84:85], v[31:32]
	v_add_f64 v[31:32], v[96:97], v[43:44]
	;; [unrolled: 1-line block ×3, first 2 shown]
	v_fma_f64 v[47:48], v[12:13], s[2:3], v[78:79]
	v_add_f64 v[51:52], v[54:55], v[72:73]
	v_fma_f64 v[53:54], v[66:67], s[34:35], v[82:83]
	v_fma_f64 v[60:61], v[12:13], s[36:37], v[90:91]
	v_fma_f64 v[62:63], v[66:67], s[34:35], -v[82:83]
	v_fma_f64 v[64:65], v[12:13], s[28:29], v[90:91]
	v_fma_f64 v[72:73], v[66:67], s[16:17], v[70:71]
	;; [unrolled: 1-line block ×3, first 2 shown]
	v_fma_f64 v[66:67], v[66:67], s[16:17], -v[70:71]
	v_fma_f64 v[12:13], v[12:13], s[14:15], v[68:69]
	v_add_f64 v[68:69], v[16:17], v[20:21]
	v_add_f64 v[16:17], v[16:17], -v[20:21]
	v_mul_f64 v[20:21], v[49:50], s[28:29]
	v_mul_f64 v[70:71], v[18:19], s[34:35]
	v_add_f64 v[22:23], v[22:23], v[74:75]
	v_mul_f64 v[74:75], v[49:50], s[0:1]
	v_mul_f64 v[82:83], v[18:19], s[4:5]
	v_add_f64 v[86:87], v[92:93], v[86:87]
	v_add_f64 v[88:89], v[94:95], v[88:89]
	;; [unrolled: 1-line block ×3, first 2 shown]
	v_mul_f64 v[76:77], v[49:50], s[22:23]
	v_mul_f64 v[84:85], v[18:19], s[26:27]
	v_add_f64 v[33:34], v[33:34], v[14:15]
	v_mul_f64 v[14:15], v[49:50], s[14:15]
	v_mul_f64 v[90:91], v[18:19], s[16:17]
	v_add_f64 v[92:93], v[47:48], v[45:46]
	;; [unrolled: 3-line block ×3, first 2 shown]
	v_add_f64 v[47:48], v[62:63], v[56:57]
	v_add_f64 v[49:50], v[64:65], v[80:81]
	;; [unrolled: 1-line block ×5, first 2 shown]
	v_fma_f64 v[60:61], v[68:69], s[34:35], v[20:21]
	v_fma_f64 v[62:63], v[16:17], s[36:37], v[70:71]
	v_fma_f64 v[20:21], v[68:69], s[34:35], -v[20:21]
	v_fma_f64 v[64:65], v[68:69], s[4:5], v[74:75]
	v_fma_f64 v[66:67], v[16:17], s[2:3], v[82:83]
	v_add_f64 v[53:54], v[72:73], v[86:87]
	v_add_f64 v[55:56], v[78:79], v[88:89]
	v_fma_f64 v[72:73], v[68:69], s[4:5], -v[74:75]
	v_fma_f64 v[74:75], v[68:69], s[26:27], v[76:77]
	v_fma_f64 v[78:79], v[16:17], s[30:31], v[84:85]
	v_fma_f64 v[76:77], v[68:69], s[26:27], -v[76:77]
	v_fma_f64 v[80:81], v[68:69], s[16:17], v[14:15]
	v_fma_f64 v[86:87], v[16:17], s[12:13], v[90:91]
	v_fma_f64 v[88:89], v[68:69], s[16:17], -v[14:15]
	v_fma_f64 v[94:95], v[68:69], s[20:21], v[45:46]
	v_fma_f64 v[96:97], v[16:17], s[24:25], v[18:19]
	v_fma_f64 v[45:46], v[68:69], s[20:21], -v[45:46]
	v_fma_f64 v[68:69], v[16:17], s[18:19], v[18:19]
	v_fma_f64 v[90:91], v[16:17], s[14:15], v[90:91]
	v_fma_f64 v[84:85], v[16:17], s[22:23], v[84:85]
	v_fma_f64 v[82:83], v[16:17], s[0:1], v[82:83]
	;; [unrolled: 1-line block ×3, first 2 shown]
	v_add_f64 v[4:5], v[10:11], v[0:1]
	v_add_f64 v[6:7], v[60:61], v[6:7]
	;; [unrolled: 1-line block ×6, first 2 shown]
	s_mov_b32 s2, 0x27a3ee9c
	v_add_f64 v[18:19], v[72:73], v[43:44]
	v_add_f64 v[25:26], v[74:75], v[22:23]
	v_add_f64 v[27:28], v[78:79], v[27:28]
	v_add_f64 v[29:30], v[76:77], v[33:34]
	v_add_f64 v[33:34], v[80:81], v[35:36]
	v_add_f64 v[35:36], v[86:87], v[41:42]
	v_add_f64 v[37:38], v[88:89], v[47:48]
	v_add_f64 v[41:42], v[94:95], v[53:54]
	v_add_f64 v[43:44], v[96:97], v[55:56]
	v_add_f64 v[45:46], v[45:46], v[39:40]
	v_add_f64 v[47:48], v[68:69], v[12:13]
	v_add_f64 v[39:40], v[90:91], v[49:50]
	v_add_f64 v[31:32], v[84:85], v[92:93]
	v_add_f64 v[20:21], v[82:83], v[51:52]
	v_add_f64 v[12:13], v[70:71], v[58:59]
	ds_write_b128 v255, v[2:5]
	ds_write_b128 v255, v[6:9] offset:2912
	ds_write_b128 v255, v[14:17] offset:5824
	;; [unrolled: 1-line block ×10, first 2 shown]
	s_waitcnt lgkmcnt(0)
	s_barrier
	buffer_gl0_inv
	ds_read_b128 v[0:3], v255
	ds_read_b128 v[4:7], v255 offset:16016
	ds_read_b128 v[8:11], v255 offset:2912
	s_clause 0x3
	buffer_load_dword v28, off, s[48:51], 0 offset:36
	buffer_load_dword v29, off, s[48:51], 0 offset:40
	;; [unrolled: 1-line block ×4, first 2 shown]
	ds_read_b128 v[12:15], v255 offset:11648
	s_mov_b32 s3, 0x3f405e1d
	s_mul_i32 s1, s9, 0x3e9
	s_mul_hi_u32 s4, s8, 0x3e9
	s_add_i32 s1, s4, s1
	s_waitcnt vmcnt(0) lgkmcnt(3)
	v_mul_f64 v[16:17], v[30:31], v[2:3]
	v_mul_f64 v[18:19], v[30:31], v[0:1]
	s_clause 0x5
	buffer_load_dword v30, off, s[48:51], 0 offset:132
	buffer_load_dword v31, off, s[48:51], 0 offset:136
	;; [unrolled: 1-line block ×6, first 2 shown]
	v_fma_f64 v[0:1], v[28:29], v[0:1], v[16:17]
	v_fma_f64 v[2:3], v[28:29], v[2:3], -v[18:19]
	s_clause 0x4
	buffer_load_dword v29, off, s[48:51], 0
	buffer_load_dword v55, off, s[48:51], 0 offset:116
	buffer_load_dword v56, off, s[48:51], 0 offset:120
	;; [unrolled: 1-line block ×4, first 2 shown]
	v_mul_f64 v[0:1], v[0:1], s[2:3]
	v_mul_f64 v[2:3], v[2:3], s[2:3]
	s_waitcnt vmcnt(7) lgkmcnt(2)
	v_mul_f64 v[20:21], v[32:33], v[6:7]
	v_mul_f64 v[22:23], v[32:33], v[4:5]
	s_waitcnt vmcnt(6)
	v_mov_b32_e32 v27, v25
	s_waitcnt vmcnt(5)
	v_mad_u64_u32 v[25:26], null, s10, v27, 0
	v_mad_u64_u32 v[18:19], null, s11, v27, v[26:27]
	s_waitcnt vmcnt(4)
	v_mad_u64_u32 v[16:17], null, s8, v29, 0
	v_fma_f64 v[19:20], v[30:31], v[4:5], v[20:21]
	v_fma_f64 v[21:22], v[30:31], v[6:7], -v[22:23]
	v_mov_b32_e32 v26, v18
	s_waitcnt vmcnt(0) lgkmcnt(1)
	v_mul_f64 v[27:28], v[57:58], v[10:11]
	v_mul_f64 v[41:42], v[57:58], v[8:9]
	v_mov_b32_e32 v4, v17
	v_lshlrev_b64 v[25:26], 4, v[25:26]
	v_mad_u64_u32 v[4:5], null, s9, v29, v[4:5]
	v_add_co_u32 v29, s0, s6, v25
	v_add_co_ci_u32_e64 v30, s0, s7, v26, s0
	v_mov_b32_e32 v17, v4
	ds_read_b128 v[4:7], v255 offset:18928
	v_lshlrev_b64 v[25:26], 4, v[16:17]
	v_mul_f64 v[16:17], v[19:20], s[2:3]
	v_mul_f64 v[18:19], v[21:22], s[2:3]
	ds_read_b128 v[20:23], v255 offset:5824
	v_fma_f64 v[8:9], v[55:56], v[8:9], v[27:28]
	v_add_co_u32 v43, s0, v29, v25
	v_add_co_ci_u32_e64 v44, s0, v30, v26, s0
	s_mul_i32 s0, s8, 0x3e9
	ds_read_b128 v[25:28], v255 offset:21840
	s_lshl_b64 s[4:5], s[0:1], 4
	s_clause 0x3
	buffer_load_dword v51, off, s[48:51], 0 offset:84
	buffer_load_dword v52, off, s[48:51], 0 offset:88
	;; [unrolled: 1-line block ×4, first 2 shown]
	v_add_co_u32 v49, s0, v43, s4
	v_add_co_ci_u32_e64 v50, s0, s5, v44, s0
	ds_read_b128 v[29:32], v255 offset:8736
	ds_read_b128 v[33:36], v255 offset:24752
	global_store_dwordx4 v[43:44], v[0:3], off
	ds_read_b128 v[37:40], v255 offset:27664
	v_fma_f64 v[2:3], v[55:56], v[10:11], -v[41:42]
	s_mul_hi_u32 s0, s8, 0xfffffccd
	s_mul_i32 s1, s9, 0xfffffccd
	global_store_dwordx4 v[49:50], v[16:19], off
	s_clause 0xb
	buffer_load_dword v67, off, s[48:51], 0 offset:100
	buffer_load_dword v68, off, s[48:51], 0 offset:104
	;; [unrolled: 1-line block ×12, first 2 shown]
	v_mul_f64 v[0:1], v[8:9], s[2:3]
	s_sub_i32 s0, s0, s8
	s_add_i32 s1, s0, s1
	s_mul_i32 s0, s8, 0xfffffccd
	s_lshl_b64 s[6:7], s[0:1], 4
	v_add_co_u32 v49, s0, v49, s6
	v_add_co_ci_u32_e64 v50, s0, s7, v50, s0
	v_mul_f64 v[2:3], v[2:3], s[2:3]
	s_waitcnt vmcnt(12) lgkmcnt(5)
	v_mul_f64 v[45:46], v[53:54], v[6:7]
	v_mul_f64 v[47:48], v[53:54], v[4:5]
	s_waitcnt vmcnt(8) lgkmcnt(4)
	v_mul_f64 v[10:11], v[69:70], v[22:23]
	v_mul_f64 v[16:17], v[69:70], v[20:21]
	s_clause 0x3
	buffer_load_dword v69, off, s[48:51], 0 offset:148
	buffer_load_dword v70, off, s[48:51], 0 offset:152
	buffer_load_dword v71, off, s[48:51], 0 offset:156
	buffer_load_dword v72, off, s[48:51], 0 offset:160
	s_waitcnt vmcnt(8) lgkmcnt(3)
	v_mul_f64 v[8:9], v[65:66], v[27:28]
	v_mul_f64 v[18:19], v[65:66], v[25:26]
	s_waitcnt vmcnt(4) lgkmcnt(2)
	v_mul_f64 v[41:42], v[61:62], v[31:32]
	v_mul_f64 v[43:44], v[61:62], v[29:30]
	v_fma_f64 v[4:5], v[51:52], v[4:5], v[45:46]
	v_fma_f64 v[6:7], v[51:52], v[6:7], -v[47:48]
	v_fma_f64 v[10:11], v[67:68], v[20:21], v[10:11]
	v_fma_f64 v[16:17], v[67:68], v[22:23], -v[16:17]
	;; [unrolled: 2-line block ×4, first 2 shown]
	v_mul_f64 v[4:5], v[4:5], s[2:3]
	v_mul_f64 v[6:7], v[6:7], s[2:3]
	;; [unrolled: 1-line block ×5, first 2 shown]
	s_waitcnt vmcnt(0) lgkmcnt(1)
	v_mul_f64 v[45:46], v[71:72], v[35:36]
	v_mul_f64 v[47:48], v[71:72], v[33:34]
	s_clause 0x3
	buffer_load_dword v71, off, s[48:51], 0 offset:164
	buffer_load_dword v72, off, s[48:51], 0 offset:168
	;; [unrolled: 1-line block ×4, first 2 shown]
	v_fma_f64 v[27:28], v[69:70], v[33:34], v[45:46]
	v_fma_f64 v[29:30], v[69:70], v[35:36], -v[47:48]
	v_mul_f64 v[22:23], v[29:30], s[2:3]
	s_waitcnt vmcnt(0)
	v_mul_f64 v[51:52], v[73:74], v[14:15]
	v_mul_f64 v[53:54], v[73:74], v[12:13]
	s_clause 0x3
	buffer_load_dword v73, off, s[48:51], 0 offset:180
	buffer_load_dword v74, off, s[48:51], 0 offset:184
	buffer_load_dword v75, off, s[48:51], 0 offset:188
	buffer_load_dword v76, off, s[48:51], 0 offset:192
	global_store_dwordx4 v[49:50], v[0:3], off
	v_fma_f64 v[31:32], v[71:72], v[12:13], v[51:52]
	v_fma_f64 v[33:34], v[71:72], v[14:15], -v[53:54]
	v_mul_f64 v[12:13], v[20:21], s[2:3]
	v_mul_f64 v[14:15], v[18:19], s[2:3]
	;; [unrolled: 1-line block ×6, first 2 shown]
	s_waitcnt vmcnt(0) lgkmcnt(0)
	v_mul_f64 v[55:56], v[75:76], v[39:40]
	v_mul_f64 v[57:58], v[75:76], v[37:38]
	v_fma_f64 v[35:36], v[73:74], v[37:38], v[55:56]
	v_fma_f64 v[37:38], v[73:74], v[39:40], -v[57:58]
	v_add_co_u32 v39, s0, v49, s4
	v_add_co_ci_u32_e64 v40, s0, s5, v50, s0
	v_add_co_u32 v41, s0, v39, s6
	v_add_co_ci_u32_e64 v42, s0, s7, v40, s0
	global_store_dwordx4 v[39:40], v[4:7], off
	v_add_co_u32 v43, s0, v41, s4
	v_add_co_ci_u32_e64 v44, s0, s5, v42, s0
	global_store_dwordx4 v[41:42], v[8:11], off
	v_add_co_u32 v33, s0, v43, s6
	v_add_co_ci_u32_e64 v34, s0, s7, v44, s0
	v_mul_f64 v[29:30], v[35:36], s[2:3]
	v_mul_f64 v[31:32], v[37:38], s[2:3]
	v_add_co_u32 v2, s0, v33, s4
	v_add_co_ci_u32_e64 v3, s0, s5, v34, s0
	v_add_co_u32 v4, s0, v2, s6
	v_add_co_ci_u32_e64 v5, s0, s7, v3, s0
	;; [unrolled: 2-line block ×3, first 2 shown]
	global_store_dwordx4 v[43:44], v[12:15], off
	global_store_dwordx4 v[33:34], v[16:19], off
	;; [unrolled: 1-line block ×5, first 2 shown]
	s_and_b32 exec_lo, exec_lo, vcc_lo
	s_cbranch_execz .LBB0_31
; %bb.30:
	s_clause 0x1
	buffer_load_dword v2, off, s[48:51], 0 offset:20
	buffer_load_dword v3, off, s[48:51], 0 offset:24
	v_add_co_u32 v6, vcc_lo, 0x7000, v242
	v_add_co_ci_u32_e32 v7, vcc_lo, 0, v24, vcc_lo
	v_add_co_u32 v0, vcc_lo, v0, s6
	v_add_co_ci_u32_e32 v1, vcc_lo, s7, v1, vcc_lo
	s_waitcnt vmcnt(0)
	s_clause 0x1
	global_load_dwordx4 v[2:5], v[2:3], off offset:224
	global_load_dwordx4 v[6:9], v[6:7], off offset:1904
	ds_read_b128 v[10:13], v255 offset:14560
	ds_read_b128 v[14:17], v255 offset:30576
	s_waitcnt vmcnt(1) lgkmcnt(1)
	v_mul_f64 v[18:19], v[12:13], v[4:5]
	v_mul_f64 v[4:5], v[10:11], v[4:5]
	s_waitcnt vmcnt(0) lgkmcnt(0)
	v_mul_f64 v[20:21], v[16:17], v[8:9]
	v_mul_f64 v[8:9], v[14:15], v[8:9]
	v_fma_f64 v[10:11], v[10:11], v[2:3], v[18:19]
	v_fma_f64 v[4:5], v[2:3], v[12:13], -v[4:5]
	v_fma_f64 v[12:13], v[14:15], v[6:7], v[20:21]
	v_fma_f64 v[8:9], v[6:7], v[16:17], -v[8:9]
	v_mul_f64 v[2:3], v[10:11], s[2:3]
	v_mul_f64 v[4:5], v[4:5], s[2:3]
	;; [unrolled: 1-line block ×4, first 2 shown]
	v_add_co_u32 v10, vcc_lo, v0, s4
	v_add_co_ci_u32_e32 v11, vcc_lo, s5, v1, vcc_lo
	global_store_dwordx4 v[0:1], v[2:5], off
	global_store_dwordx4 v[10:11], v[6:9], off
.LBB0_31:
	s_endpgm
	.section	.rodata,"a",@progbits
	.p2align	6, 0x0
	.amdhsa_kernel bluestein_single_back_len2002_dim1_dp_op_CI_CI
		.amdhsa_group_segment_fixed_size 32032
		.amdhsa_private_segment_fixed_size 648
		.amdhsa_kernarg_size 104
		.amdhsa_user_sgpr_count 6
		.amdhsa_user_sgpr_private_segment_buffer 1
		.amdhsa_user_sgpr_dispatch_ptr 0
		.amdhsa_user_sgpr_queue_ptr 0
		.amdhsa_user_sgpr_kernarg_segment_ptr 1
		.amdhsa_user_sgpr_dispatch_id 0
		.amdhsa_user_sgpr_flat_scratch_init 0
		.amdhsa_user_sgpr_private_segment_size 0
		.amdhsa_wavefront_size32 1
		.amdhsa_uses_dynamic_stack 0
		.amdhsa_system_sgpr_private_segment_wavefront_offset 1
		.amdhsa_system_sgpr_workgroup_id_x 1
		.amdhsa_system_sgpr_workgroup_id_y 0
		.amdhsa_system_sgpr_workgroup_id_z 0
		.amdhsa_system_sgpr_workgroup_info 0
		.amdhsa_system_vgpr_workitem_id 0
		.amdhsa_next_free_vgpr 256
		.amdhsa_next_free_sgpr 52
		.amdhsa_reserve_vcc 1
		.amdhsa_reserve_flat_scratch 0
		.amdhsa_float_round_mode_32 0
		.amdhsa_float_round_mode_16_64 0
		.amdhsa_float_denorm_mode_32 3
		.amdhsa_float_denorm_mode_16_64 3
		.amdhsa_dx10_clamp 1
		.amdhsa_ieee_mode 1
		.amdhsa_fp16_overflow 0
		.amdhsa_workgroup_processor_mode 1
		.amdhsa_memory_ordered 1
		.amdhsa_forward_progress 0
		.amdhsa_shared_vgpr_count 0
		.amdhsa_exception_fp_ieee_invalid_op 0
		.amdhsa_exception_fp_denorm_src 0
		.amdhsa_exception_fp_ieee_div_zero 0
		.amdhsa_exception_fp_ieee_overflow 0
		.amdhsa_exception_fp_ieee_underflow 0
		.amdhsa_exception_fp_ieee_inexact 0
		.amdhsa_exception_int_div_zero 0
	.end_amdhsa_kernel
	.text
.Lfunc_end0:
	.size	bluestein_single_back_len2002_dim1_dp_op_CI_CI, .Lfunc_end0-bluestein_single_back_len2002_dim1_dp_op_CI_CI
                                        ; -- End function
	.section	.AMDGPU.csdata,"",@progbits
; Kernel info:
; codeLenInByte = 28752
; NumSgprs: 54
; NumVgprs: 256
; ScratchSize: 648
; MemoryBound: 0
; FloatMode: 240
; IeeeMode: 1
; LDSByteSize: 32032 bytes/workgroup (compile time only)
; SGPRBlocks: 6
; VGPRBlocks: 31
; NumSGPRsForWavesPerEU: 54
; NumVGPRsForWavesPerEU: 256
; Occupancy: 4
; WaveLimiterHint : 1
; COMPUTE_PGM_RSRC2:SCRATCH_EN: 1
; COMPUTE_PGM_RSRC2:USER_SGPR: 6
; COMPUTE_PGM_RSRC2:TRAP_HANDLER: 0
; COMPUTE_PGM_RSRC2:TGID_X_EN: 1
; COMPUTE_PGM_RSRC2:TGID_Y_EN: 0
; COMPUTE_PGM_RSRC2:TGID_Z_EN: 0
; COMPUTE_PGM_RSRC2:TIDIG_COMP_CNT: 0
	.text
	.p2alignl 6, 3214868480
	.fill 48, 4, 3214868480
	.type	__hip_cuid_44797dcd2afe9a76,@object ; @__hip_cuid_44797dcd2afe9a76
	.section	.bss,"aw",@nobits
	.globl	__hip_cuid_44797dcd2afe9a76
__hip_cuid_44797dcd2afe9a76:
	.byte	0                               ; 0x0
	.size	__hip_cuid_44797dcd2afe9a76, 1

	.ident	"AMD clang version 19.0.0git (https://github.com/RadeonOpenCompute/llvm-project roc-6.4.0 25133 c7fe45cf4b819c5991fe208aaa96edf142730f1d)"
	.section	".note.GNU-stack","",@progbits
	.addrsig
	.addrsig_sym __hip_cuid_44797dcd2afe9a76
	.amdgpu_metadata
---
amdhsa.kernels:
  - .args:
      - .actual_access:  read_only
        .address_space:  global
        .offset:         0
        .size:           8
        .value_kind:     global_buffer
      - .actual_access:  read_only
        .address_space:  global
        .offset:         8
        .size:           8
        .value_kind:     global_buffer
      - .actual_access:  read_only
        .address_space:  global
        .offset:         16
        .size:           8
        .value_kind:     global_buffer
      - .actual_access:  read_only
        .address_space:  global
        .offset:         24
        .size:           8
        .value_kind:     global_buffer
      - .actual_access:  read_only
        .address_space:  global
        .offset:         32
        .size:           8
        .value_kind:     global_buffer
      - .offset:         40
        .size:           8
        .value_kind:     by_value
      - .address_space:  global
        .offset:         48
        .size:           8
        .value_kind:     global_buffer
      - .address_space:  global
        .offset:         56
        .size:           8
        .value_kind:     global_buffer
      - .address_space:  global
        .offset:         64
        .size:           8
        .value_kind:     global_buffer
      - .address_space:  global
        .offset:         72
        .size:           8
        .value_kind:     global_buffer
      - .offset:         80
        .size:           4
        .value_kind:     by_value
      - .address_space:  global
        .offset:         88
        .size:           8
        .value_kind:     global_buffer
      - .address_space:  global
        .offset:         96
        .size:           8
        .value_kind:     global_buffer
    .group_segment_fixed_size: 32032
    .kernarg_segment_align: 8
    .kernarg_segment_size: 104
    .language:       OpenCL C
    .language_version:
      - 2
      - 0
    .max_flat_workgroup_size: 182
    .name:           bluestein_single_back_len2002_dim1_dp_op_CI_CI
    .private_segment_fixed_size: 648
    .sgpr_count:     54
    .sgpr_spill_count: 0
    .symbol:         bluestein_single_back_len2002_dim1_dp_op_CI_CI.kd
    .uniform_work_group_size: 1
    .uses_dynamic_stack: false
    .vgpr_count:     256
    .vgpr_spill_count: 195
    .wavefront_size: 32
    .workgroup_processor_mode: 1
amdhsa.target:   amdgcn-amd-amdhsa--gfx1030
amdhsa.version:
  - 1
  - 2
...

	.end_amdgpu_metadata
